;; amdgpu-corpus repo=ROCm/rocSPARSE kind=compiled arch=gfx90a opt=O3
	.text
	.amdgcn_target "amdgcn-amd-amdhsa--gfx90a"
	.amdhsa_code_object_version 6
	.section	.text._ZN9rocsparseL16coo2dense_kernelILj512EiDF16_EEvT0_S1_ll21rocsparse_index_base_PKT1_PKS1_S7_PS3_16rocsparse_order_,"axG",@progbits,_ZN9rocsparseL16coo2dense_kernelILj512EiDF16_EEvT0_S1_ll21rocsparse_index_base_PKT1_PKS1_S7_PS3_16rocsparse_order_,comdat
	.globl	_ZN9rocsparseL16coo2dense_kernelILj512EiDF16_EEvT0_S1_ll21rocsparse_index_base_PKT1_PKS1_S7_PS3_16rocsparse_order_ ; -- Begin function _ZN9rocsparseL16coo2dense_kernelILj512EiDF16_EEvT0_S1_ll21rocsparse_index_base_PKT1_PKS1_S7_PS3_16rocsparse_order_
	.p2align	8
	.type	_ZN9rocsparseL16coo2dense_kernelILj512EiDF16_EEvT0_S1_ll21rocsparse_index_base_PKT1_PKS1_S7_PS3_16rocsparse_order_,@function
_ZN9rocsparseL16coo2dense_kernelILj512EiDF16_EEvT0_S1_ll21rocsparse_index_base_PKT1_PKS1_S7_PS3_16rocsparse_order_: ; @_ZN9rocsparseL16coo2dense_kernelILj512EiDF16_EEvT0_S1_ll21rocsparse_index_base_PKT1_PKS1_S7_PS3_16rocsparse_order_
; %bb.0:
	s_load_dwordx4 s[0:3], s[4:5], 0x8
	v_lshl_or_b32 v0, s6, 9, v0
	v_mov_b32_e32 v1, 0
	s_waitcnt lgkmcnt(0)
	v_cmp_gt_i64_e32 vcc, s[0:1], v[0:1]
	s_and_saveexec_b64 s[0:1], vcc
	s_cbranch_execz .LBB0_2
; %bb.1:
	s_load_dwordx8 s[8:15], s[4:5], 0x20
	v_lshlrev_b64 v[2:3], 2, v[0:1]
	v_lshlrev_b64 v[0:1], 1, v[0:1]
	s_waitcnt lgkmcnt(0)
	v_mov_b32_e32 v5, s11
	v_add_co_u32_e32 v4, vcc, s10, v2
	v_addc_co_u32_e32 v5, vcc, v5, v3, vcc
	global_load_dword v4, v[4:5], off
	v_mov_b32_e32 v5, s13
	v_add_co_u32_e32 v2, vcc, s12, v2
	v_addc_co_u32_e32 v3, vcc, v5, v3, vcc
	global_load_dword v2, v[2:3], off
	v_mov_b32_e32 v3, s9
	v_add_co_u32_e32 v0, vcc, s8, v0
	v_addc_co_u32_e32 v1, vcc, v3, v1, vcc
	global_load_ushort v5, v[0:1], off
	s_load_dword s0, s[4:5], 0x40
	s_load_dword s1, s[4:5], 0x18
	v_mov_b32_e32 v6, s15
	s_waitcnt lgkmcnt(0)
	s_cmp_eq_u32 s0, 1
	s_cselect_b64 vcc, -1, 0
	s_waitcnt vmcnt(2)
	v_subrev_u32_e32 v0, s1, v4
	s_waitcnt vmcnt(1)
	v_subrev_u32_e32 v1, s1, v2
	v_cndmask_b32_e32 v2, v0, v1, vcc
	v_ashrrev_i32_e32 v4, 31, v2
	v_mul_lo_u32 v7, v2, s3
	v_mad_u64_u32 v[2:3], s[0:1], v2, s2, 0
	v_mul_lo_u32 v4, v4, s2
	v_add3_u32 v3, v3, v7, v4
	v_cndmask_b32_e32 v0, v1, v0, vcc
	v_lshlrev_b64 v[2:3], 1, v[2:3]
	v_ashrrev_i32_e32 v1, 31, v0
	v_add_co_u32_e32 v2, vcc, s14, v2
	v_lshlrev_b64 v[0:1], 1, v[0:1]
	v_addc_co_u32_e32 v3, vcc, v6, v3, vcc
	v_add_co_u32_e32 v0, vcc, v2, v0
	v_addc_co_u32_e32 v1, vcc, v3, v1, vcc
	s_waitcnt vmcnt(0)
	global_store_short v[0:1], v5, off
.LBB0_2:
	s_endpgm
	.section	.rodata,"a",@progbits
	.p2align	6, 0x0
	.amdhsa_kernel _ZN9rocsparseL16coo2dense_kernelILj512EiDF16_EEvT0_S1_ll21rocsparse_index_base_PKT1_PKS1_S7_PS3_16rocsparse_order_
		.amdhsa_group_segment_fixed_size 0
		.amdhsa_private_segment_fixed_size 0
		.amdhsa_kernarg_size 68
		.amdhsa_user_sgpr_count 6
		.amdhsa_user_sgpr_private_segment_buffer 1
		.amdhsa_user_sgpr_dispatch_ptr 0
		.amdhsa_user_sgpr_queue_ptr 0
		.amdhsa_user_sgpr_kernarg_segment_ptr 1
		.amdhsa_user_sgpr_dispatch_id 0
		.amdhsa_user_sgpr_flat_scratch_init 0
		.amdhsa_user_sgpr_kernarg_preload_length 0
		.amdhsa_user_sgpr_kernarg_preload_offset 0
		.amdhsa_user_sgpr_private_segment_size 0
		.amdhsa_uses_dynamic_stack 0
		.amdhsa_system_sgpr_private_segment_wavefront_offset 0
		.amdhsa_system_sgpr_workgroup_id_x 1
		.amdhsa_system_sgpr_workgroup_id_y 0
		.amdhsa_system_sgpr_workgroup_id_z 0
		.amdhsa_system_sgpr_workgroup_info 0
		.amdhsa_system_vgpr_workitem_id 0
		.amdhsa_next_free_vgpr 8
		.amdhsa_next_free_sgpr 16
		.amdhsa_accum_offset 8
		.amdhsa_reserve_vcc 1
		.amdhsa_reserve_flat_scratch 0
		.amdhsa_float_round_mode_32 0
		.amdhsa_float_round_mode_16_64 0
		.amdhsa_float_denorm_mode_32 3
		.amdhsa_float_denorm_mode_16_64 3
		.amdhsa_dx10_clamp 1
		.amdhsa_ieee_mode 1
		.amdhsa_fp16_overflow 0
		.amdhsa_tg_split 0
		.amdhsa_exception_fp_ieee_invalid_op 0
		.amdhsa_exception_fp_denorm_src 0
		.amdhsa_exception_fp_ieee_div_zero 0
		.amdhsa_exception_fp_ieee_overflow 0
		.amdhsa_exception_fp_ieee_underflow 0
		.amdhsa_exception_fp_ieee_inexact 0
		.amdhsa_exception_int_div_zero 0
	.end_amdhsa_kernel
	.section	.text._ZN9rocsparseL16coo2dense_kernelILj512EiDF16_EEvT0_S1_ll21rocsparse_index_base_PKT1_PKS1_S7_PS3_16rocsparse_order_,"axG",@progbits,_ZN9rocsparseL16coo2dense_kernelILj512EiDF16_EEvT0_S1_ll21rocsparse_index_base_PKT1_PKS1_S7_PS3_16rocsparse_order_,comdat
.Lfunc_end0:
	.size	_ZN9rocsparseL16coo2dense_kernelILj512EiDF16_EEvT0_S1_ll21rocsparse_index_base_PKT1_PKS1_S7_PS3_16rocsparse_order_, .Lfunc_end0-_ZN9rocsparseL16coo2dense_kernelILj512EiDF16_EEvT0_S1_ll21rocsparse_index_base_PKT1_PKS1_S7_PS3_16rocsparse_order_
                                        ; -- End function
	.section	.AMDGPU.csdata,"",@progbits
; Kernel info:
; codeLenInByte = 268
; NumSgprs: 20
; NumVgprs: 8
; NumAgprs: 0
; TotalNumVgprs: 8
; ScratchSize: 0
; MemoryBound: 0
; FloatMode: 240
; IeeeMode: 1
; LDSByteSize: 0 bytes/workgroup (compile time only)
; SGPRBlocks: 2
; VGPRBlocks: 0
; NumSGPRsForWavesPerEU: 20
; NumVGPRsForWavesPerEU: 8
; AccumOffset: 8
; Occupancy: 8
; WaveLimiterHint : 1
; COMPUTE_PGM_RSRC2:SCRATCH_EN: 0
; COMPUTE_PGM_RSRC2:USER_SGPR: 6
; COMPUTE_PGM_RSRC2:TRAP_HANDLER: 0
; COMPUTE_PGM_RSRC2:TGID_X_EN: 1
; COMPUTE_PGM_RSRC2:TGID_Y_EN: 0
; COMPUTE_PGM_RSRC2:TGID_Z_EN: 0
; COMPUTE_PGM_RSRC2:TIDIG_COMP_CNT: 0
; COMPUTE_PGM_RSRC3_GFX90A:ACCUM_OFFSET: 1
; COMPUTE_PGM_RSRC3_GFX90A:TG_SPLIT: 0
	.section	.text._ZN9rocsparseL16coo2dense_kernelILj512Ei18rocsparse_bfloat16EEvT0_S2_ll21rocsparse_index_base_PKT1_PKS2_S8_PS4_16rocsparse_order_,"axG",@progbits,_ZN9rocsparseL16coo2dense_kernelILj512Ei18rocsparse_bfloat16EEvT0_S2_ll21rocsparse_index_base_PKT1_PKS2_S8_PS4_16rocsparse_order_,comdat
	.globl	_ZN9rocsparseL16coo2dense_kernelILj512Ei18rocsparse_bfloat16EEvT0_S2_ll21rocsparse_index_base_PKT1_PKS2_S8_PS4_16rocsparse_order_ ; -- Begin function _ZN9rocsparseL16coo2dense_kernelILj512Ei18rocsparse_bfloat16EEvT0_S2_ll21rocsparse_index_base_PKT1_PKS2_S8_PS4_16rocsparse_order_
	.p2align	8
	.type	_ZN9rocsparseL16coo2dense_kernelILj512Ei18rocsparse_bfloat16EEvT0_S2_ll21rocsparse_index_base_PKT1_PKS2_S8_PS4_16rocsparse_order_,@function
_ZN9rocsparseL16coo2dense_kernelILj512Ei18rocsparse_bfloat16EEvT0_S2_ll21rocsparse_index_base_PKT1_PKS2_S8_PS4_16rocsparse_order_: ; @_ZN9rocsparseL16coo2dense_kernelILj512Ei18rocsparse_bfloat16EEvT0_S2_ll21rocsparse_index_base_PKT1_PKS2_S8_PS4_16rocsparse_order_
; %bb.0:
	s_load_dwordx4 s[0:3], s[4:5], 0x8
	v_lshl_or_b32 v0, s6, 9, v0
	v_mov_b32_e32 v1, 0
	s_waitcnt lgkmcnt(0)
	v_cmp_gt_i64_e32 vcc, s[0:1], v[0:1]
	s_and_saveexec_b64 s[0:1], vcc
	s_cbranch_execz .LBB1_2
; %bb.1:
	s_load_dwordx8 s[8:15], s[4:5], 0x20
	v_lshlrev_b64 v[2:3], 2, v[0:1]
	v_lshlrev_b64 v[0:1], 1, v[0:1]
	s_waitcnt lgkmcnt(0)
	v_mov_b32_e32 v5, s11
	v_add_co_u32_e32 v4, vcc, s10, v2
	v_addc_co_u32_e32 v5, vcc, v5, v3, vcc
	global_load_dword v4, v[4:5], off
	v_mov_b32_e32 v5, s13
	v_add_co_u32_e32 v2, vcc, s12, v2
	v_addc_co_u32_e32 v3, vcc, v5, v3, vcc
	global_load_dword v2, v[2:3], off
	v_mov_b32_e32 v3, s9
	v_add_co_u32_e32 v0, vcc, s8, v0
	v_addc_co_u32_e32 v1, vcc, v3, v1, vcc
	global_load_ushort v5, v[0:1], off
	s_load_dword s0, s[4:5], 0x40
	s_load_dword s1, s[4:5], 0x18
	v_mov_b32_e32 v6, s15
	s_waitcnt lgkmcnt(0)
	s_cmp_eq_u32 s0, 1
	s_cselect_b64 vcc, -1, 0
	s_waitcnt vmcnt(2)
	v_subrev_u32_e32 v0, s1, v4
	s_waitcnt vmcnt(1)
	v_subrev_u32_e32 v1, s1, v2
	v_cndmask_b32_e32 v2, v0, v1, vcc
	v_ashrrev_i32_e32 v4, 31, v2
	v_mul_lo_u32 v7, v2, s3
	v_mad_u64_u32 v[2:3], s[0:1], v2, s2, 0
	v_mul_lo_u32 v4, v4, s2
	v_add3_u32 v3, v3, v7, v4
	v_cndmask_b32_e32 v0, v1, v0, vcc
	v_lshlrev_b64 v[2:3], 1, v[2:3]
	v_ashrrev_i32_e32 v1, 31, v0
	v_add_co_u32_e32 v2, vcc, s14, v2
	v_lshlrev_b64 v[0:1], 1, v[0:1]
	v_addc_co_u32_e32 v3, vcc, v6, v3, vcc
	v_add_co_u32_e32 v0, vcc, v2, v0
	v_addc_co_u32_e32 v1, vcc, v3, v1, vcc
	s_waitcnt vmcnt(0)
	global_store_short v[0:1], v5, off
.LBB1_2:
	s_endpgm
	.section	.rodata,"a",@progbits
	.p2align	6, 0x0
	.amdhsa_kernel _ZN9rocsparseL16coo2dense_kernelILj512Ei18rocsparse_bfloat16EEvT0_S2_ll21rocsparse_index_base_PKT1_PKS2_S8_PS4_16rocsparse_order_
		.amdhsa_group_segment_fixed_size 0
		.amdhsa_private_segment_fixed_size 0
		.amdhsa_kernarg_size 68
		.amdhsa_user_sgpr_count 6
		.amdhsa_user_sgpr_private_segment_buffer 1
		.amdhsa_user_sgpr_dispatch_ptr 0
		.amdhsa_user_sgpr_queue_ptr 0
		.amdhsa_user_sgpr_kernarg_segment_ptr 1
		.amdhsa_user_sgpr_dispatch_id 0
		.amdhsa_user_sgpr_flat_scratch_init 0
		.amdhsa_user_sgpr_kernarg_preload_length 0
		.amdhsa_user_sgpr_kernarg_preload_offset 0
		.amdhsa_user_sgpr_private_segment_size 0
		.amdhsa_uses_dynamic_stack 0
		.amdhsa_system_sgpr_private_segment_wavefront_offset 0
		.amdhsa_system_sgpr_workgroup_id_x 1
		.amdhsa_system_sgpr_workgroup_id_y 0
		.amdhsa_system_sgpr_workgroup_id_z 0
		.amdhsa_system_sgpr_workgroup_info 0
		.amdhsa_system_vgpr_workitem_id 0
		.amdhsa_next_free_vgpr 8
		.amdhsa_next_free_sgpr 16
		.amdhsa_accum_offset 8
		.amdhsa_reserve_vcc 1
		.amdhsa_reserve_flat_scratch 0
		.amdhsa_float_round_mode_32 0
		.amdhsa_float_round_mode_16_64 0
		.amdhsa_float_denorm_mode_32 3
		.amdhsa_float_denorm_mode_16_64 3
		.amdhsa_dx10_clamp 1
		.amdhsa_ieee_mode 1
		.amdhsa_fp16_overflow 0
		.amdhsa_tg_split 0
		.amdhsa_exception_fp_ieee_invalid_op 0
		.amdhsa_exception_fp_denorm_src 0
		.amdhsa_exception_fp_ieee_div_zero 0
		.amdhsa_exception_fp_ieee_overflow 0
		.amdhsa_exception_fp_ieee_underflow 0
		.amdhsa_exception_fp_ieee_inexact 0
		.amdhsa_exception_int_div_zero 0
	.end_amdhsa_kernel
	.section	.text._ZN9rocsparseL16coo2dense_kernelILj512Ei18rocsparse_bfloat16EEvT0_S2_ll21rocsparse_index_base_PKT1_PKS2_S8_PS4_16rocsparse_order_,"axG",@progbits,_ZN9rocsparseL16coo2dense_kernelILj512Ei18rocsparse_bfloat16EEvT0_S2_ll21rocsparse_index_base_PKT1_PKS2_S8_PS4_16rocsparse_order_,comdat
.Lfunc_end1:
	.size	_ZN9rocsparseL16coo2dense_kernelILj512Ei18rocsparse_bfloat16EEvT0_S2_ll21rocsparse_index_base_PKT1_PKS2_S8_PS4_16rocsparse_order_, .Lfunc_end1-_ZN9rocsparseL16coo2dense_kernelILj512Ei18rocsparse_bfloat16EEvT0_S2_ll21rocsparse_index_base_PKT1_PKS2_S8_PS4_16rocsparse_order_
                                        ; -- End function
	.section	.AMDGPU.csdata,"",@progbits
; Kernel info:
; codeLenInByte = 268
; NumSgprs: 20
; NumVgprs: 8
; NumAgprs: 0
; TotalNumVgprs: 8
; ScratchSize: 0
; MemoryBound: 0
; FloatMode: 240
; IeeeMode: 1
; LDSByteSize: 0 bytes/workgroup (compile time only)
; SGPRBlocks: 2
; VGPRBlocks: 0
; NumSGPRsForWavesPerEU: 20
; NumVGPRsForWavesPerEU: 8
; AccumOffset: 8
; Occupancy: 8
; WaveLimiterHint : 1
; COMPUTE_PGM_RSRC2:SCRATCH_EN: 0
; COMPUTE_PGM_RSRC2:USER_SGPR: 6
; COMPUTE_PGM_RSRC2:TRAP_HANDLER: 0
; COMPUTE_PGM_RSRC2:TGID_X_EN: 1
; COMPUTE_PGM_RSRC2:TGID_Y_EN: 0
; COMPUTE_PGM_RSRC2:TGID_Z_EN: 0
; COMPUTE_PGM_RSRC2:TIDIG_COMP_CNT: 0
; COMPUTE_PGM_RSRC3_GFX90A:ACCUM_OFFSET: 1
; COMPUTE_PGM_RSRC3_GFX90A:TG_SPLIT: 0
	.section	.text._ZN9rocsparseL16coo2dense_kernelILj512EifEEvT0_S1_ll21rocsparse_index_base_PKT1_PKS1_S7_PS3_16rocsparse_order_,"axG",@progbits,_ZN9rocsparseL16coo2dense_kernelILj512EifEEvT0_S1_ll21rocsparse_index_base_PKT1_PKS1_S7_PS3_16rocsparse_order_,comdat
	.globl	_ZN9rocsparseL16coo2dense_kernelILj512EifEEvT0_S1_ll21rocsparse_index_base_PKT1_PKS1_S7_PS3_16rocsparse_order_ ; -- Begin function _ZN9rocsparseL16coo2dense_kernelILj512EifEEvT0_S1_ll21rocsparse_index_base_PKT1_PKS1_S7_PS3_16rocsparse_order_
	.p2align	8
	.type	_ZN9rocsparseL16coo2dense_kernelILj512EifEEvT0_S1_ll21rocsparse_index_base_PKT1_PKS1_S7_PS3_16rocsparse_order_,@function
_ZN9rocsparseL16coo2dense_kernelILj512EifEEvT0_S1_ll21rocsparse_index_base_PKT1_PKS1_S7_PS3_16rocsparse_order_: ; @_ZN9rocsparseL16coo2dense_kernelILj512EifEEvT0_S1_ll21rocsparse_index_base_PKT1_PKS1_S7_PS3_16rocsparse_order_
; %bb.0:
	s_load_dwordx4 s[0:3], s[4:5], 0x8
	v_lshl_or_b32 v0, s6, 9, v0
	v_mov_b32_e32 v1, 0
	s_waitcnt lgkmcnt(0)
	v_cmp_gt_i64_e32 vcc, s[0:1], v[0:1]
	s_and_saveexec_b64 s[0:1], vcc
	s_cbranch_execz .LBB2_2
; %bb.1:
	s_load_dwordx8 s[8:15], s[4:5], 0x20
	v_lshlrev_b64 v[0:1], 2, v[0:1]
	s_waitcnt lgkmcnt(0)
	v_mov_b32_e32 v3, s11
	v_add_co_u32_e32 v2, vcc, s10, v0
	v_addc_co_u32_e32 v3, vcc, v3, v1, vcc
	global_load_dword v4, v[2:3], off
	v_mov_b32_e32 v3, s13
	v_add_co_u32_e32 v2, vcc, s12, v0
	v_addc_co_u32_e32 v3, vcc, v3, v1, vcc
	global_load_dword v2, v[2:3], off
	v_mov_b32_e32 v3, s9
	v_add_co_u32_e32 v0, vcc, s8, v0
	v_addc_co_u32_e32 v1, vcc, v3, v1, vcc
	global_load_dword v5, v[0:1], off
	s_load_dword s0, s[4:5], 0x40
	s_load_dword s1, s[4:5], 0x18
	v_mov_b32_e32 v6, s15
	s_waitcnt lgkmcnt(0)
	s_cmp_eq_u32 s0, 1
	s_cselect_b64 vcc, -1, 0
	s_waitcnt vmcnt(2)
	v_subrev_u32_e32 v0, s1, v4
	s_waitcnt vmcnt(1)
	v_subrev_u32_e32 v1, s1, v2
	v_cndmask_b32_e32 v2, v0, v1, vcc
	v_ashrrev_i32_e32 v4, 31, v2
	v_mul_lo_u32 v7, v2, s3
	v_mad_u64_u32 v[2:3], s[0:1], v2, s2, 0
	v_mul_lo_u32 v4, v4, s2
	v_add3_u32 v3, v3, v7, v4
	v_cndmask_b32_e32 v0, v1, v0, vcc
	v_lshlrev_b64 v[2:3], 2, v[2:3]
	v_ashrrev_i32_e32 v1, 31, v0
	v_add_co_u32_e32 v2, vcc, s14, v2
	v_lshlrev_b64 v[0:1], 2, v[0:1]
	v_addc_co_u32_e32 v3, vcc, v6, v3, vcc
	v_add_co_u32_e32 v0, vcc, v2, v0
	v_addc_co_u32_e32 v1, vcc, v3, v1, vcc
	s_waitcnt vmcnt(0)
	global_store_dword v[0:1], v5, off
.LBB2_2:
	s_endpgm
	.section	.rodata,"a",@progbits
	.p2align	6, 0x0
	.amdhsa_kernel _ZN9rocsparseL16coo2dense_kernelILj512EifEEvT0_S1_ll21rocsparse_index_base_PKT1_PKS1_S7_PS3_16rocsparse_order_
		.amdhsa_group_segment_fixed_size 0
		.amdhsa_private_segment_fixed_size 0
		.amdhsa_kernarg_size 68
		.amdhsa_user_sgpr_count 6
		.amdhsa_user_sgpr_private_segment_buffer 1
		.amdhsa_user_sgpr_dispatch_ptr 0
		.amdhsa_user_sgpr_queue_ptr 0
		.amdhsa_user_sgpr_kernarg_segment_ptr 1
		.amdhsa_user_sgpr_dispatch_id 0
		.amdhsa_user_sgpr_flat_scratch_init 0
		.amdhsa_user_sgpr_kernarg_preload_length 0
		.amdhsa_user_sgpr_kernarg_preload_offset 0
		.amdhsa_user_sgpr_private_segment_size 0
		.amdhsa_uses_dynamic_stack 0
		.amdhsa_system_sgpr_private_segment_wavefront_offset 0
		.amdhsa_system_sgpr_workgroup_id_x 1
		.amdhsa_system_sgpr_workgroup_id_y 0
		.amdhsa_system_sgpr_workgroup_id_z 0
		.amdhsa_system_sgpr_workgroup_info 0
		.amdhsa_system_vgpr_workitem_id 0
		.amdhsa_next_free_vgpr 8
		.amdhsa_next_free_sgpr 16
		.amdhsa_accum_offset 8
		.amdhsa_reserve_vcc 1
		.amdhsa_reserve_flat_scratch 0
		.amdhsa_float_round_mode_32 0
		.amdhsa_float_round_mode_16_64 0
		.amdhsa_float_denorm_mode_32 3
		.amdhsa_float_denorm_mode_16_64 3
		.amdhsa_dx10_clamp 1
		.amdhsa_ieee_mode 1
		.amdhsa_fp16_overflow 0
		.amdhsa_tg_split 0
		.amdhsa_exception_fp_ieee_invalid_op 0
		.amdhsa_exception_fp_denorm_src 0
		.amdhsa_exception_fp_ieee_div_zero 0
		.amdhsa_exception_fp_ieee_overflow 0
		.amdhsa_exception_fp_ieee_underflow 0
		.amdhsa_exception_fp_ieee_inexact 0
		.amdhsa_exception_int_div_zero 0
	.end_amdhsa_kernel
	.section	.text._ZN9rocsparseL16coo2dense_kernelILj512EifEEvT0_S1_ll21rocsparse_index_base_PKT1_PKS1_S7_PS3_16rocsparse_order_,"axG",@progbits,_ZN9rocsparseL16coo2dense_kernelILj512EifEEvT0_S1_ll21rocsparse_index_base_PKT1_PKS1_S7_PS3_16rocsparse_order_,comdat
.Lfunc_end2:
	.size	_ZN9rocsparseL16coo2dense_kernelILj512EifEEvT0_S1_ll21rocsparse_index_base_PKT1_PKS1_S7_PS3_16rocsparse_order_, .Lfunc_end2-_ZN9rocsparseL16coo2dense_kernelILj512EifEEvT0_S1_ll21rocsparse_index_base_PKT1_PKS1_S7_PS3_16rocsparse_order_
                                        ; -- End function
	.section	.AMDGPU.csdata,"",@progbits
; Kernel info:
; codeLenInByte = 260
; NumSgprs: 20
; NumVgprs: 8
; NumAgprs: 0
; TotalNumVgprs: 8
; ScratchSize: 0
; MemoryBound: 0
; FloatMode: 240
; IeeeMode: 1
; LDSByteSize: 0 bytes/workgroup (compile time only)
; SGPRBlocks: 2
; VGPRBlocks: 0
; NumSGPRsForWavesPerEU: 20
; NumVGPRsForWavesPerEU: 8
; AccumOffset: 8
; Occupancy: 8
; WaveLimiterHint : 1
; COMPUTE_PGM_RSRC2:SCRATCH_EN: 0
; COMPUTE_PGM_RSRC2:USER_SGPR: 6
; COMPUTE_PGM_RSRC2:TRAP_HANDLER: 0
; COMPUTE_PGM_RSRC2:TGID_X_EN: 1
; COMPUTE_PGM_RSRC2:TGID_Y_EN: 0
; COMPUTE_PGM_RSRC2:TGID_Z_EN: 0
; COMPUTE_PGM_RSRC2:TIDIG_COMP_CNT: 0
; COMPUTE_PGM_RSRC3_GFX90A:ACCUM_OFFSET: 1
; COMPUTE_PGM_RSRC3_GFX90A:TG_SPLIT: 0
	.section	.text._ZN9rocsparseL16coo2dense_kernelILj512EidEEvT0_S1_ll21rocsparse_index_base_PKT1_PKS1_S7_PS3_16rocsparse_order_,"axG",@progbits,_ZN9rocsparseL16coo2dense_kernelILj512EidEEvT0_S1_ll21rocsparse_index_base_PKT1_PKS1_S7_PS3_16rocsparse_order_,comdat
	.globl	_ZN9rocsparseL16coo2dense_kernelILj512EidEEvT0_S1_ll21rocsparse_index_base_PKT1_PKS1_S7_PS3_16rocsparse_order_ ; -- Begin function _ZN9rocsparseL16coo2dense_kernelILj512EidEEvT0_S1_ll21rocsparse_index_base_PKT1_PKS1_S7_PS3_16rocsparse_order_
	.p2align	8
	.type	_ZN9rocsparseL16coo2dense_kernelILj512EidEEvT0_S1_ll21rocsparse_index_base_PKT1_PKS1_S7_PS3_16rocsparse_order_,@function
_ZN9rocsparseL16coo2dense_kernelILj512EidEEvT0_S1_ll21rocsparse_index_base_PKT1_PKS1_S7_PS3_16rocsparse_order_: ; @_ZN9rocsparseL16coo2dense_kernelILj512EidEEvT0_S1_ll21rocsparse_index_base_PKT1_PKS1_S7_PS3_16rocsparse_order_
; %bb.0:
	s_load_dwordx4 s[0:3], s[4:5], 0x8
	v_lshl_or_b32 v0, s6, 9, v0
	v_mov_b32_e32 v1, 0
	s_waitcnt lgkmcnt(0)
	v_cmp_gt_i64_e32 vcc, s[0:1], v[0:1]
	s_and_saveexec_b64 s[0:1], vcc
	s_cbranch_execz .LBB3_2
; %bb.1:
	s_load_dwordx8 s[8:15], s[4:5], 0x20
	v_lshlrev_b64 v[2:3], 2, v[0:1]
	v_lshlrev_b64 v[0:1], 3, v[0:1]
	s_waitcnt lgkmcnt(0)
	v_mov_b32_e32 v5, s11
	v_add_co_u32_e32 v4, vcc, s10, v2
	v_addc_co_u32_e32 v5, vcc, v5, v3, vcc
	global_load_dword v4, v[4:5], off
	v_mov_b32_e32 v5, s13
	v_add_co_u32_e32 v2, vcc, s12, v2
	v_addc_co_u32_e32 v3, vcc, v5, v3, vcc
	global_load_dword v2, v[2:3], off
	v_mov_b32_e32 v3, s9
	v_add_co_u32_e32 v0, vcc, s8, v0
	v_addc_co_u32_e32 v1, vcc, v3, v1, vcc
	global_load_dwordx2 v[0:1], v[0:1], off
	s_load_dword s0, s[4:5], 0x40
	s_load_dword s1, s[4:5], 0x18
	v_mov_b32_e32 v6, s15
	s_waitcnt lgkmcnt(0)
	s_cmp_eq_u32 s0, 1
	s_cselect_b64 vcc, -1, 0
	s_waitcnt vmcnt(2)
	v_subrev_u32_e32 v3, s1, v4
	s_waitcnt vmcnt(1)
	v_subrev_u32_e32 v2, s1, v2
	v_cndmask_b32_e32 v4, v3, v2, vcc
	v_ashrrev_i32_e32 v7, 31, v4
	v_mul_lo_u32 v8, v4, s3
	v_mad_u64_u32 v[4:5], s[0:1], v4, s2, 0
	v_mul_lo_u32 v7, v7, s2
	v_add3_u32 v5, v5, v8, v7
	v_cndmask_b32_e32 v2, v2, v3, vcc
	v_lshlrev_b64 v[4:5], 3, v[4:5]
	v_ashrrev_i32_e32 v3, 31, v2
	v_add_co_u32_e32 v4, vcc, s14, v4
	v_lshlrev_b64 v[2:3], 3, v[2:3]
	v_addc_co_u32_e32 v5, vcc, v6, v5, vcc
	v_add_co_u32_e32 v2, vcc, v4, v2
	v_addc_co_u32_e32 v3, vcc, v5, v3, vcc
	s_waitcnt vmcnt(0)
	global_store_dwordx2 v[2:3], v[0:1], off
.LBB3_2:
	s_endpgm
	.section	.rodata,"a",@progbits
	.p2align	6, 0x0
	.amdhsa_kernel _ZN9rocsparseL16coo2dense_kernelILj512EidEEvT0_S1_ll21rocsparse_index_base_PKT1_PKS1_S7_PS3_16rocsparse_order_
		.amdhsa_group_segment_fixed_size 0
		.amdhsa_private_segment_fixed_size 0
		.amdhsa_kernarg_size 68
		.amdhsa_user_sgpr_count 6
		.amdhsa_user_sgpr_private_segment_buffer 1
		.amdhsa_user_sgpr_dispatch_ptr 0
		.amdhsa_user_sgpr_queue_ptr 0
		.amdhsa_user_sgpr_kernarg_segment_ptr 1
		.amdhsa_user_sgpr_dispatch_id 0
		.amdhsa_user_sgpr_flat_scratch_init 0
		.amdhsa_user_sgpr_kernarg_preload_length 0
		.amdhsa_user_sgpr_kernarg_preload_offset 0
		.amdhsa_user_sgpr_private_segment_size 0
		.amdhsa_uses_dynamic_stack 0
		.amdhsa_system_sgpr_private_segment_wavefront_offset 0
		.amdhsa_system_sgpr_workgroup_id_x 1
		.amdhsa_system_sgpr_workgroup_id_y 0
		.amdhsa_system_sgpr_workgroup_id_z 0
		.amdhsa_system_sgpr_workgroup_info 0
		.amdhsa_system_vgpr_workitem_id 0
		.amdhsa_next_free_vgpr 9
		.amdhsa_next_free_sgpr 16
		.amdhsa_accum_offset 12
		.amdhsa_reserve_vcc 1
		.amdhsa_reserve_flat_scratch 0
		.amdhsa_float_round_mode_32 0
		.amdhsa_float_round_mode_16_64 0
		.amdhsa_float_denorm_mode_32 3
		.amdhsa_float_denorm_mode_16_64 3
		.amdhsa_dx10_clamp 1
		.amdhsa_ieee_mode 1
		.amdhsa_fp16_overflow 0
		.amdhsa_tg_split 0
		.amdhsa_exception_fp_ieee_invalid_op 0
		.amdhsa_exception_fp_denorm_src 0
		.amdhsa_exception_fp_ieee_div_zero 0
		.amdhsa_exception_fp_ieee_overflow 0
		.amdhsa_exception_fp_ieee_underflow 0
		.amdhsa_exception_fp_ieee_inexact 0
		.amdhsa_exception_int_div_zero 0
	.end_amdhsa_kernel
	.section	.text._ZN9rocsparseL16coo2dense_kernelILj512EidEEvT0_S1_ll21rocsparse_index_base_PKT1_PKS1_S7_PS3_16rocsparse_order_,"axG",@progbits,_ZN9rocsparseL16coo2dense_kernelILj512EidEEvT0_S1_ll21rocsparse_index_base_PKT1_PKS1_S7_PS3_16rocsparse_order_,comdat
.Lfunc_end3:
	.size	_ZN9rocsparseL16coo2dense_kernelILj512EidEEvT0_S1_ll21rocsparse_index_base_PKT1_PKS1_S7_PS3_16rocsparse_order_, .Lfunc_end3-_ZN9rocsparseL16coo2dense_kernelILj512EidEEvT0_S1_ll21rocsparse_index_base_PKT1_PKS1_S7_PS3_16rocsparse_order_
                                        ; -- End function
	.section	.AMDGPU.csdata,"",@progbits
; Kernel info:
; codeLenInByte = 268
; NumSgprs: 20
; NumVgprs: 9
; NumAgprs: 0
; TotalNumVgprs: 9
; ScratchSize: 0
; MemoryBound: 0
; FloatMode: 240
; IeeeMode: 1
; LDSByteSize: 0 bytes/workgroup (compile time only)
; SGPRBlocks: 2
; VGPRBlocks: 1
; NumSGPRsForWavesPerEU: 20
; NumVGPRsForWavesPerEU: 9
; AccumOffset: 12
; Occupancy: 8
; WaveLimiterHint : 1
; COMPUTE_PGM_RSRC2:SCRATCH_EN: 0
; COMPUTE_PGM_RSRC2:USER_SGPR: 6
; COMPUTE_PGM_RSRC2:TRAP_HANDLER: 0
; COMPUTE_PGM_RSRC2:TGID_X_EN: 1
; COMPUTE_PGM_RSRC2:TGID_Y_EN: 0
; COMPUTE_PGM_RSRC2:TGID_Z_EN: 0
; COMPUTE_PGM_RSRC2:TIDIG_COMP_CNT: 0
; COMPUTE_PGM_RSRC3_GFX90A:ACCUM_OFFSET: 2
; COMPUTE_PGM_RSRC3_GFX90A:TG_SPLIT: 0
	.section	.text._ZN9rocsparseL16coo2dense_kernelILj512Ei21rocsparse_complex_numIfEEEvT0_S3_ll21rocsparse_index_base_PKT1_PKS3_S9_PS5_16rocsparse_order_,"axG",@progbits,_ZN9rocsparseL16coo2dense_kernelILj512Ei21rocsparse_complex_numIfEEEvT0_S3_ll21rocsparse_index_base_PKT1_PKS3_S9_PS5_16rocsparse_order_,comdat
	.globl	_ZN9rocsparseL16coo2dense_kernelILj512Ei21rocsparse_complex_numIfEEEvT0_S3_ll21rocsparse_index_base_PKT1_PKS3_S9_PS5_16rocsparse_order_ ; -- Begin function _ZN9rocsparseL16coo2dense_kernelILj512Ei21rocsparse_complex_numIfEEEvT0_S3_ll21rocsparse_index_base_PKT1_PKS3_S9_PS5_16rocsparse_order_
	.p2align	8
	.type	_ZN9rocsparseL16coo2dense_kernelILj512Ei21rocsparse_complex_numIfEEEvT0_S3_ll21rocsparse_index_base_PKT1_PKS3_S9_PS5_16rocsparse_order_,@function
_ZN9rocsparseL16coo2dense_kernelILj512Ei21rocsparse_complex_numIfEEEvT0_S3_ll21rocsparse_index_base_PKT1_PKS3_S9_PS5_16rocsparse_order_: ; @_ZN9rocsparseL16coo2dense_kernelILj512Ei21rocsparse_complex_numIfEEEvT0_S3_ll21rocsparse_index_base_PKT1_PKS3_S9_PS5_16rocsparse_order_
; %bb.0:
	s_load_dwordx4 s[0:3], s[4:5], 0x8
	v_lshl_or_b32 v0, s6, 9, v0
	v_mov_b32_e32 v1, 0
	s_waitcnt lgkmcnt(0)
	v_cmp_gt_i64_e32 vcc, s[0:1], v[0:1]
	s_and_saveexec_b64 s[0:1], vcc
	s_cbranch_execz .LBB4_2
; %bb.1:
	s_load_dwordx8 s[8:15], s[4:5], 0x20
	v_lshlrev_b64 v[2:3], 2, v[0:1]
	v_lshlrev_b64 v[0:1], 3, v[0:1]
	s_waitcnt lgkmcnt(0)
	v_mov_b32_e32 v5, s11
	v_add_co_u32_e32 v4, vcc, s10, v2
	v_addc_co_u32_e32 v5, vcc, v5, v3, vcc
	global_load_dword v4, v[4:5], off
	v_mov_b32_e32 v5, s13
	v_add_co_u32_e32 v2, vcc, s12, v2
	v_addc_co_u32_e32 v3, vcc, v5, v3, vcc
	global_load_dword v2, v[2:3], off
	v_mov_b32_e32 v3, s9
	v_add_co_u32_e32 v0, vcc, s8, v0
	v_addc_co_u32_e32 v1, vcc, v3, v1, vcc
	global_load_dwordx2 v[0:1], v[0:1], off
	s_load_dword s0, s[4:5], 0x40
	s_load_dword s1, s[4:5], 0x18
	v_mov_b32_e32 v6, s15
	s_waitcnt lgkmcnt(0)
	s_cmp_eq_u32 s0, 1
	s_cselect_b64 vcc, -1, 0
	s_waitcnt vmcnt(2)
	v_subrev_u32_e32 v3, s1, v4
	s_waitcnt vmcnt(1)
	v_subrev_u32_e32 v2, s1, v2
	v_cndmask_b32_e32 v4, v3, v2, vcc
	v_ashrrev_i32_e32 v7, 31, v4
	v_mul_lo_u32 v8, v4, s3
	v_mad_u64_u32 v[4:5], s[0:1], v4, s2, 0
	v_mul_lo_u32 v7, v7, s2
	v_add3_u32 v5, v5, v8, v7
	v_cndmask_b32_e32 v2, v2, v3, vcc
	v_lshlrev_b64 v[4:5], 3, v[4:5]
	v_ashrrev_i32_e32 v3, 31, v2
	v_add_co_u32_e32 v4, vcc, s14, v4
	v_lshlrev_b64 v[2:3], 3, v[2:3]
	v_addc_co_u32_e32 v5, vcc, v6, v5, vcc
	v_add_co_u32_e32 v2, vcc, v4, v2
	v_addc_co_u32_e32 v3, vcc, v5, v3, vcc
	s_waitcnt vmcnt(0)
	global_store_dwordx2 v[2:3], v[0:1], off
.LBB4_2:
	s_endpgm
	.section	.rodata,"a",@progbits
	.p2align	6, 0x0
	.amdhsa_kernel _ZN9rocsparseL16coo2dense_kernelILj512Ei21rocsparse_complex_numIfEEEvT0_S3_ll21rocsparse_index_base_PKT1_PKS3_S9_PS5_16rocsparse_order_
		.amdhsa_group_segment_fixed_size 0
		.amdhsa_private_segment_fixed_size 0
		.amdhsa_kernarg_size 68
		.amdhsa_user_sgpr_count 6
		.amdhsa_user_sgpr_private_segment_buffer 1
		.amdhsa_user_sgpr_dispatch_ptr 0
		.amdhsa_user_sgpr_queue_ptr 0
		.amdhsa_user_sgpr_kernarg_segment_ptr 1
		.amdhsa_user_sgpr_dispatch_id 0
		.amdhsa_user_sgpr_flat_scratch_init 0
		.amdhsa_user_sgpr_kernarg_preload_length 0
		.amdhsa_user_sgpr_kernarg_preload_offset 0
		.amdhsa_user_sgpr_private_segment_size 0
		.amdhsa_uses_dynamic_stack 0
		.amdhsa_system_sgpr_private_segment_wavefront_offset 0
		.amdhsa_system_sgpr_workgroup_id_x 1
		.amdhsa_system_sgpr_workgroup_id_y 0
		.amdhsa_system_sgpr_workgroup_id_z 0
		.amdhsa_system_sgpr_workgroup_info 0
		.amdhsa_system_vgpr_workitem_id 0
		.amdhsa_next_free_vgpr 9
		.amdhsa_next_free_sgpr 16
		.amdhsa_accum_offset 12
		.amdhsa_reserve_vcc 1
		.amdhsa_reserve_flat_scratch 0
		.amdhsa_float_round_mode_32 0
		.amdhsa_float_round_mode_16_64 0
		.amdhsa_float_denorm_mode_32 3
		.amdhsa_float_denorm_mode_16_64 3
		.amdhsa_dx10_clamp 1
		.amdhsa_ieee_mode 1
		.amdhsa_fp16_overflow 0
		.amdhsa_tg_split 0
		.amdhsa_exception_fp_ieee_invalid_op 0
		.amdhsa_exception_fp_denorm_src 0
		.amdhsa_exception_fp_ieee_div_zero 0
		.amdhsa_exception_fp_ieee_overflow 0
		.amdhsa_exception_fp_ieee_underflow 0
		.amdhsa_exception_fp_ieee_inexact 0
		.amdhsa_exception_int_div_zero 0
	.end_amdhsa_kernel
	.section	.text._ZN9rocsparseL16coo2dense_kernelILj512Ei21rocsparse_complex_numIfEEEvT0_S3_ll21rocsparse_index_base_PKT1_PKS3_S9_PS5_16rocsparse_order_,"axG",@progbits,_ZN9rocsparseL16coo2dense_kernelILj512Ei21rocsparse_complex_numIfEEEvT0_S3_ll21rocsparse_index_base_PKT1_PKS3_S9_PS5_16rocsparse_order_,comdat
.Lfunc_end4:
	.size	_ZN9rocsparseL16coo2dense_kernelILj512Ei21rocsparse_complex_numIfEEEvT0_S3_ll21rocsparse_index_base_PKT1_PKS3_S9_PS5_16rocsparse_order_, .Lfunc_end4-_ZN9rocsparseL16coo2dense_kernelILj512Ei21rocsparse_complex_numIfEEEvT0_S3_ll21rocsparse_index_base_PKT1_PKS3_S9_PS5_16rocsparse_order_
                                        ; -- End function
	.section	.AMDGPU.csdata,"",@progbits
; Kernel info:
; codeLenInByte = 268
; NumSgprs: 20
; NumVgprs: 9
; NumAgprs: 0
; TotalNumVgprs: 9
; ScratchSize: 0
; MemoryBound: 0
; FloatMode: 240
; IeeeMode: 1
; LDSByteSize: 0 bytes/workgroup (compile time only)
; SGPRBlocks: 2
; VGPRBlocks: 1
; NumSGPRsForWavesPerEU: 20
; NumVGPRsForWavesPerEU: 9
; AccumOffset: 12
; Occupancy: 8
; WaveLimiterHint : 1
; COMPUTE_PGM_RSRC2:SCRATCH_EN: 0
; COMPUTE_PGM_RSRC2:USER_SGPR: 6
; COMPUTE_PGM_RSRC2:TRAP_HANDLER: 0
; COMPUTE_PGM_RSRC2:TGID_X_EN: 1
; COMPUTE_PGM_RSRC2:TGID_Y_EN: 0
; COMPUTE_PGM_RSRC2:TGID_Z_EN: 0
; COMPUTE_PGM_RSRC2:TIDIG_COMP_CNT: 0
; COMPUTE_PGM_RSRC3_GFX90A:ACCUM_OFFSET: 2
; COMPUTE_PGM_RSRC3_GFX90A:TG_SPLIT: 0
	.section	.text._ZN9rocsparseL16coo2dense_kernelILj512Ei21rocsparse_complex_numIdEEEvT0_S3_ll21rocsparse_index_base_PKT1_PKS3_S9_PS5_16rocsparse_order_,"axG",@progbits,_ZN9rocsparseL16coo2dense_kernelILj512Ei21rocsparse_complex_numIdEEEvT0_S3_ll21rocsparse_index_base_PKT1_PKS3_S9_PS5_16rocsparse_order_,comdat
	.globl	_ZN9rocsparseL16coo2dense_kernelILj512Ei21rocsparse_complex_numIdEEEvT0_S3_ll21rocsparse_index_base_PKT1_PKS3_S9_PS5_16rocsparse_order_ ; -- Begin function _ZN9rocsparseL16coo2dense_kernelILj512Ei21rocsparse_complex_numIdEEEvT0_S3_ll21rocsparse_index_base_PKT1_PKS3_S9_PS5_16rocsparse_order_
	.p2align	8
	.type	_ZN9rocsparseL16coo2dense_kernelILj512Ei21rocsparse_complex_numIdEEEvT0_S3_ll21rocsparse_index_base_PKT1_PKS3_S9_PS5_16rocsparse_order_,@function
_ZN9rocsparseL16coo2dense_kernelILj512Ei21rocsparse_complex_numIdEEEvT0_S3_ll21rocsparse_index_base_PKT1_PKS3_S9_PS5_16rocsparse_order_: ; @_ZN9rocsparseL16coo2dense_kernelILj512Ei21rocsparse_complex_numIdEEEvT0_S3_ll21rocsparse_index_base_PKT1_PKS3_S9_PS5_16rocsparse_order_
; %bb.0:
	s_load_dwordx4 s[0:3], s[4:5], 0x8
	v_lshl_or_b32 v0, s6, 9, v0
	v_mov_b32_e32 v1, 0
	s_waitcnt lgkmcnt(0)
	v_cmp_gt_i64_e32 vcc, s[0:1], v[0:1]
	s_and_saveexec_b64 s[0:1], vcc
	s_cbranch_execz .LBB5_2
; %bb.1:
	s_load_dwordx8 s[8:15], s[4:5], 0x20
	v_lshlrev_b64 v[2:3], 2, v[0:1]
	v_lshlrev_b64 v[0:1], 4, v[0:1]
	s_waitcnt lgkmcnt(0)
	v_mov_b32_e32 v5, s11
	v_add_co_u32_e32 v4, vcc, s10, v2
	v_addc_co_u32_e32 v5, vcc, v5, v3, vcc
	global_load_dword v4, v[4:5], off
	v_mov_b32_e32 v5, s13
	v_add_co_u32_e32 v2, vcc, s12, v2
	v_addc_co_u32_e32 v3, vcc, v5, v3, vcc
	global_load_dword v5, v[2:3], off
	v_mov_b32_e32 v2, s9
	v_add_co_u32_e32 v0, vcc, s8, v0
	v_addc_co_u32_e32 v1, vcc, v2, v1, vcc
	global_load_dwordx4 v[0:3], v[0:1], off
	s_load_dword s0, s[4:5], 0x40
	s_load_dword s1, s[4:5], 0x18
	v_mov_b32_e32 v8, s15
	s_waitcnt lgkmcnt(0)
	s_cmp_eq_u32 s0, 1
	s_cselect_b64 vcc, -1, 0
	s_waitcnt vmcnt(2)
	v_subrev_u32_e32 v4, s1, v4
	s_waitcnt vmcnt(1)
	v_subrev_u32_e32 v5, s1, v5
	v_cndmask_b32_e32 v6, v4, v5, vcc
	v_ashrrev_i32_e32 v9, 31, v6
	v_mul_lo_u32 v10, v6, s3
	v_mad_u64_u32 v[6:7], s[0:1], v6, s2, 0
	v_mul_lo_u32 v9, v9, s2
	v_add3_u32 v7, v7, v10, v9
	v_cndmask_b32_e32 v4, v5, v4, vcc
	v_lshlrev_b64 v[6:7], 4, v[6:7]
	v_ashrrev_i32_e32 v5, 31, v4
	v_add_co_u32_e32 v6, vcc, s14, v6
	v_lshlrev_b64 v[4:5], 4, v[4:5]
	v_addc_co_u32_e32 v7, vcc, v8, v7, vcc
	v_add_co_u32_e32 v4, vcc, v6, v4
	v_addc_co_u32_e32 v5, vcc, v7, v5, vcc
	s_waitcnt vmcnt(0)
	global_store_dwordx4 v[4:5], v[0:3], off
.LBB5_2:
	s_endpgm
	.section	.rodata,"a",@progbits
	.p2align	6, 0x0
	.amdhsa_kernel _ZN9rocsparseL16coo2dense_kernelILj512Ei21rocsparse_complex_numIdEEEvT0_S3_ll21rocsparse_index_base_PKT1_PKS3_S9_PS5_16rocsparse_order_
		.amdhsa_group_segment_fixed_size 0
		.amdhsa_private_segment_fixed_size 0
		.amdhsa_kernarg_size 68
		.amdhsa_user_sgpr_count 6
		.amdhsa_user_sgpr_private_segment_buffer 1
		.amdhsa_user_sgpr_dispatch_ptr 0
		.amdhsa_user_sgpr_queue_ptr 0
		.amdhsa_user_sgpr_kernarg_segment_ptr 1
		.amdhsa_user_sgpr_dispatch_id 0
		.amdhsa_user_sgpr_flat_scratch_init 0
		.amdhsa_user_sgpr_kernarg_preload_length 0
		.amdhsa_user_sgpr_kernarg_preload_offset 0
		.amdhsa_user_sgpr_private_segment_size 0
		.amdhsa_uses_dynamic_stack 0
		.amdhsa_system_sgpr_private_segment_wavefront_offset 0
		.amdhsa_system_sgpr_workgroup_id_x 1
		.amdhsa_system_sgpr_workgroup_id_y 0
		.amdhsa_system_sgpr_workgroup_id_z 0
		.amdhsa_system_sgpr_workgroup_info 0
		.amdhsa_system_vgpr_workitem_id 0
		.amdhsa_next_free_vgpr 11
		.amdhsa_next_free_sgpr 16
		.amdhsa_accum_offset 12
		.amdhsa_reserve_vcc 1
		.amdhsa_reserve_flat_scratch 0
		.amdhsa_float_round_mode_32 0
		.amdhsa_float_round_mode_16_64 0
		.amdhsa_float_denorm_mode_32 3
		.amdhsa_float_denorm_mode_16_64 3
		.amdhsa_dx10_clamp 1
		.amdhsa_ieee_mode 1
		.amdhsa_fp16_overflow 0
		.amdhsa_tg_split 0
		.amdhsa_exception_fp_ieee_invalid_op 0
		.amdhsa_exception_fp_denorm_src 0
		.amdhsa_exception_fp_ieee_div_zero 0
		.amdhsa_exception_fp_ieee_overflow 0
		.amdhsa_exception_fp_ieee_underflow 0
		.amdhsa_exception_fp_ieee_inexact 0
		.amdhsa_exception_int_div_zero 0
	.end_amdhsa_kernel
	.section	.text._ZN9rocsparseL16coo2dense_kernelILj512Ei21rocsparse_complex_numIdEEEvT0_S3_ll21rocsparse_index_base_PKT1_PKS3_S9_PS5_16rocsparse_order_,"axG",@progbits,_ZN9rocsparseL16coo2dense_kernelILj512Ei21rocsparse_complex_numIdEEEvT0_S3_ll21rocsparse_index_base_PKT1_PKS3_S9_PS5_16rocsparse_order_,comdat
.Lfunc_end5:
	.size	_ZN9rocsparseL16coo2dense_kernelILj512Ei21rocsparse_complex_numIdEEEvT0_S3_ll21rocsparse_index_base_PKT1_PKS3_S9_PS5_16rocsparse_order_, .Lfunc_end5-_ZN9rocsparseL16coo2dense_kernelILj512Ei21rocsparse_complex_numIdEEEvT0_S3_ll21rocsparse_index_base_PKT1_PKS3_S9_PS5_16rocsparse_order_
                                        ; -- End function
	.section	.AMDGPU.csdata,"",@progbits
; Kernel info:
; codeLenInByte = 268
; NumSgprs: 20
; NumVgprs: 11
; NumAgprs: 0
; TotalNumVgprs: 11
; ScratchSize: 0
; MemoryBound: 0
; FloatMode: 240
; IeeeMode: 1
; LDSByteSize: 0 bytes/workgroup (compile time only)
; SGPRBlocks: 2
; VGPRBlocks: 1
; NumSGPRsForWavesPerEU: 20
; NumVGPRsForWavesPerEU: 11
; AccumOffset: 12
; Occupancy: 8
; WaveLimiterHint : 1
; COMPUTE_PGM_RSRC2:SCRATCH_EN: 0
; COMPUTE_PGM_RSRC2:USER_SGPR: 6
; COMPUTE_PGM_RSRC2:TRAP_HANDLER: 0
; COMPUTE_PGM_RSRC2:TGID_X_EN: 1
; COMPUTE_PGM_RSRC2:TGID_Y_EN: 0
; COMPUTE_PGM_RSRC2:TGID_Z_EN: 0
; COMPUTE_PGM_RSRC2:TIDIG_COMP_CNT: 0
; COMPUTE_PGM_RSRC3_GFX90A:ACCUM_OFFSET: 2
; COMPUTE_PGM_RSRC3_GFX90A:TG_SPLIT: 0
	.section	.text._ZN9rocsparseL16coo2dense_kernelILj512ElDF16_EEvT0_S1_ll21rocsparse_index_base_PKT1_PKS1_S7_PS3_16rocsparse_order_,"axG",@progbits,_ZN9rocsparseL16coo2dense_kernelILj512ElDF16_EEvT0_S1_ll21rocsparse_index_base_PKT1_PKS1_S7_PS3_16rocsparse_order_,comdat
	.globl	_ZN9rocsparseL16coo2dense_kernelILj512ElDF16_EEvT0_S1_ll21rocsparse_index_base_PKT1_PKS1_S7_PS3_16rocsparse_order_ ; -- Begin function _ZN9rocsparseL16coo2dense_kernelILj512ElDF16_EEvT0_S1_ll21rocsparse_index_base_PKT1_PKS1_S7_PS3_16rocsparse_order_
	.p2align	8
	.type	_ZN9rocsparseL16coo2dense_kernelILj512ElDF16_EEvT0_S1_ll21rocsparse_index_base_PKT1_PKS1_S7_PS3_16rocsparse_order_,@function
_ZN9rocsparseL16coo2dense_kernelILj512ElDF16_EEvT0_S1_ll21rocsparse_index_base_PKT1_PKS1_S7_PS3_16rocsparse_order_: ; @_ZN9rocsparseL16coo2dense_kernelILj512ElDF16_EEvT0_S1_ll21rocsparse_index_base_PKT1_PKS1_S7_PS3_16rocsparse_order_
; %bb.0:
	s_load_dwordx4 s[0:3], s[4:5], 0x10
	v_lshl_or_b32 v0, s6, 9, v0
	v_mov_b32_e32 v1, 0
	s_waitcnt lgkmcnt(0)
	v_cmp_gt_i64_e32 vcc, s[0:1], v[0:1]
	s_and_saveexec_b64 s[0:1], vcc
	s_cbranch_execz .LBB6_2
; %bb.1:
	s_load_dwordx8 s[8:15], s[4:5], 0x28
	v_lshlrev_b64 v[2:3], 3, v[0:1]
	v_lshlrev_b64 v[0:1], 1, v[0:1]
	s_waitcnt lgkmcnt(0)
	v_mov_b32_e32 v5, s11
	v_add_co_u32_e32 v4, vcc, s10, v2
	v_addc_co_u32_e32 v5, vcc, v5, v3, vcc
	global_load_dwordx2 v[4:5], v[4:5], off
	v_mov_b32_e32 v6, s13
	v_add_co_u32_e32 v2, vcc, s12, v2
	v_addc_co_u32_e32 v3, vcc, v6, v3, vcc
	global_load_dwordx2 v[2:3], v[2:3], off
	v_mov_b32_e32 v6, s9
	v_add_co_u32_e32 v0, vcc, s8, v0
	v_addc_co_u32_e32 v1, vcc, v6, v1, vcc
	global_load_ushort v6, v[0:1], off
	s_load_dword s0, s[4:5], 0x48
	s_load_dword s1, s[4:5], 0x20
	v_mov_b32_e32 v7, s15
	s_waitcnt lgkmcnt(0)
	s_cmp_eq_u32 s0, 1
	s_waitcnt vmcnt(2)
	v_subrev_co_u32_e32 v0, vcc, s1, v4
	v_subbrev_co_u32_e32 v1, vcc, 0, v5, vcc
	s_waitcnt vmcnt(1)
	v_subrev_co_u32_e32 v2, vcc, s1, v2
	v_subbrev_co_u32_e32 v3, vcc, 0, v3, vcc
	s_cselect_b64 vcc, -1, 0
	v_cndmask_b32_e32 v4, v0, v2, vcc
	v_cndmask_b32_e32 v5, v1, v3, vcc
	;; [unrolled: 1-line block ×4, first 2 shown]
	v_mul_lo_u32 v5, v5, s2
	v_mul_lo_u32 v8, v4, s3
	v_mad_u64_u32 v[2:3], s[0:1], v4, s2, 0
	v_add3_u32 v3, v3, v8, v5
	v_lshlrev_b64 v[2:3], 1, v[2:3]
	v_add_co_u32_e32 v2, vcc, s14, v2
	v_lshlrev_b64 v[0:1], 1, v[0:1]
	v_addc_co_u32_e32 v3, vcc, v7, v3, vcc
	v_add_co_u32_e32 v0, vcc, v2, v0
	v_addc_co_u32_e32 v1, vcc, v3, v1, vcc
	s_waitcnt vmcnt(0)
	global_store_short v[0:1], v6, off
.LBB6_2:
	s_endpgm
	.section	.rodata,"a",@progbits
	.p2align	6, 0x0
	.amdhsa_kernel _ZN9rocsparseL16coo2dense_kernelILj512ElDF16_EEvT0_S1_ll21rocsparse_index_base_PKT1_PKS1_S7_PS3_16rocsparse_order_
		.amdhsa_group_segment_fixed_size 0
		.amdhsa_private_segment_fixed_size 0
		.amdhsa_kernarg_size 76
		.amdhsa_user_sgpr_count 6
		.amdhsa_user_sgpr_private_segment_buffer 1
		.amdhsa_user_sgpr_dispatch_ptr 0
		.amdhsa_user_sgpr_queue_ptr 0
		.amdhsa_user_sgpr_kernarg_segment_ptr 1
		.amdhsa_user_sgpr_dispatch_id 0
		.amdhsa_user_sgpr_flat_scratch_init 0
		.amdhsa_user_sgpr_kernarg_preload_length 0
		.amdhsa_user_sgpr_kernarg_preload_offset 0
		.amdhsa_user_sgpr_private_segment_size 0
		.amdhsa_uses_dynamic_stack 0
		.amdhsa_system_sgpr_private_segment_wavefront_offset 0
		.amdhsa_system_sgpr_workgroup_id_x 1
		.amdhsa_system_sgpr_workgroup_id_y 0
		.amdhsa_system_sgpr_workgroup_id_z 0
		.amdhsa_system_sgpr_workgroup_info 0
		.amdhsa_system_vgpr_workitem_id 0
		.amdhsa_next_free_vgpr 9
		.amdhsa_next_free_sgpr 16
		.amdhsa_accum_offset 12
		.amdhsa_reserve_vcc 1
		.amdhsa_reserve_flat_scratch 0
		.amdhsa_float_round_mode_32 0
		.amdhsa_float_round_mode_16_64 0
		.amdhsa_float_denorm_mode_32 3
		.amdhsa_float_denorm_mode_16_64 3
		.amdhsa_dx10_clamp 1
		.amdhsa_ieee_mode 1
		.amdhsa_fp16_overflow 0
		.amdhsa_tg_split 0
		.amdhsa_exception_fp_ieee_invalid_op 0
		.amdhsa_exception_fp_denorm_src 0
		.amdhsa_exception_fp_ieee_div_zero 0
		.amdhsa_exception_fp_ieee_overflow 0
		.amdhsa_exception_fp_ieee_underflow 0
		.amdhsa_exception_fp_ieee_inexact 0
		.amdhsa_exception_int_div_zero 0
	.end_amdhsa_kernel
	.section	.text._ZN9rocsparseL16coo2dense_kernelILj512ElDF16_EEvT0_S1_ll21rocsparse_index_base_PKT1_PKS1_S7_PS3_16rocsparse_order_,"axG",@progbits,_ZN9rocsparseL16coo2dense_kernelILj512ElDF16_EEvT0_S1_ll21rocsparse_index_base_PKT1_PKS1_S7_PS3_16rocsparse_order_,comdat
.Lfunc_end6:
	.size	_ZN9rocsparseL16coo2dense_kernelILj512ElDF16_EEvT0_S1_ll21rocsparse_index_base_PKT1_PKS1_S7_PS3_16rocsparse_order_, .Lfunc_end6-_ZN9rocsparseL16coo2dense_kernelILj512ElDF16_EEvT0_S1_ll21rocsparse_index_base_PKT1_PKS1_S7_PS3_16rocsparse_order_
                                        ; -- End function
	.section	.AMDGPU.csdata,"",@progbits
; Kernel info:
; codeLenInByte = 276
; NumSgprs: 20
; NumVgprs: 9
; NumAgprs: 0
; TotalNumVgprs: 9
; ScratchSize: 0
; MemoryBound: 0
; FloatMode: 240
; IeeeMode: 1
; LDSByteSize: 0 bytes/workgroup (compile time only)
; SGPRBlocks: 2
; VGPRBlocks: 1
; NumSGPRsForWavesPerEU: 20
; NumVGPRsForWavesPerEU: 9
; AccumOffset: 12
; Occupancy: 8
; WaveLimiterHint : 1
; COMPUTE_PGM_RSRC2:SCRATCH_EN: 0
; COMPUTE_PGM_RSRC2:USER_SGPR: 6
; COMPUTE_PGM_RSRC2:TRAP_HANDLER: 0
; COMPUTE_PGM_RSRC2:TGID_X_EN: 1
; COMPUTE_PGM_RSRC2:TGID_Y_EN: 0
; COMPUTE_PGM_RSRC2:TGID_Z_EN: 0
; COMPUTE_PGM_RSRC2:TIDIG_COMP_CNT: 0
; COMPUTE_PGM_RSRC3_GFX90A:ACCUM_OFFSET: 2
; COMPUTE_PGM_RSRC3_GFX90A:TG_SPLIT: 0
	.section	.text._ZN9rocsparseL16coo2dense_kernelILj512El18rocsparse_bfloat16EEvT0_S2_ll21rocsparse_index_base_PKT1_PKS2_S8_PS4_16rocsparse_order_,"axG",@progbits,_ZN9rocsparseL16coo2dense_kernelILj512El18rocsparse_bfloat16EEvT0_S2_ll21rocsparse_index_base_PKT1_PKS2_S8_PS4_16rocsparse_order_,comdat
	.globl	_ZN9rocsparseL16coo2dense_kernelILj512El18rocsparse_bfloat16EEvT0_S2_ll21rocsparse_index_base_PKT1_PKS2_S8_PS4_16rocsparse_order_ ; -- Begin function _ZN9rocsparseL16coo2dense_kernelILj512El18rocsparse_bfloat16EEvT0_S2_ll21rocsparse_index_base_PKT1_PKS2_S8_PS4_16rocsparse_order_
	.p2align	8
	.type	_ZN9rocsparseL16coo2dense_kernelILj512El18rocsparse_bfloat16EEvT0_S2_ll21rocsparse_index_base_PKT1_PKS2_S8_PS4_16rocsparse_order_,@function
_ZN9rocsparseL16coo2dense_kernelILj512El18rocsparse_bfloat16EEvT0_S2_ll21rocsparse_index_base_PKT1_PKS2_S8_PS4_16rocsparse_order_: ; @_ZN9rocsparseL16coo2dense_kernelILj512El18rocsparse_bfloat16EEvT0_S2_ll21rocsparse_index_base_PKT1_PKS2_S8_PS4_16rocsparse_order_
; %bb.0:
	s_load_dwordx4 s[0:3], s[4:5], 0x10
	v_lshl_or_b32 v0, s6, 9, v0
	v_mov_b32_e32 v1, 0
	s_waitcnt lgkmcnt(0)
	v_cmp_gt_i64_e32 vcc, s[0:1], v[0:1]
	s_and_saveexec_b64 s[0:1], vcc
	s_cbranch_execz .LBB7_2
; %bb.1:
	s_load_dwordx8 s[8:15], s[4:5], 0x28
	v_lshlrev_b64 v[2:3], 3, v[0:1]
	v_lshlrev_b64 v[0:1], 1, v[0:1]
	s_waitcnt lgkmcnt(0)
	v_mov_b32_e32 v5, s11
	v_add_co_u32_e32 v4, vcc, s10, v2
	v_addc_co_u32_e32 v5, vcc, v5, v3, vcc
	global_load_dwordx2 v[4:5], v[4:5], off
	v_mov_b32_e32 v6, s13
	v_add_co_u32_e32 v2, vcc, s12, v2
	v_addc_co_u32_e32 v3, vcc, v6, v3, vcc
	global_load_dwordx2 v[2:3], v[2:3], off
	v_mov_b32_e32 v6, s9
	v_add_co_u32_e32 v0, vcc, s8, v0
	v_addc_co_u32_e32 v1, vcc, v6, v1, vcc
	global_load_ushort v6, v[0:1], off
	s_load_dword s0, s[4:5], 0x48
	s_load_dword s1, s[4:5], 0x20
	v_mov_b32_e32 v7, s15
	s_waitcnt lgkmcnt(0)
	s_cmp_eq_u32 s0, 1
	s_waitcnt vmcnt(2)
	v_subrev_co_u32_e32 v0, vcc, s1, v4
	v_subbrev_co_u32_e32 v1, vcc, 0, v5, vcc
	s_waitcnt vmcnt(1)
	v_subrev_co_u32_e32 v2, vcc, s1, v2
	v_subbrev_co_u32_e32 v3, vcc, 0, v3, vcc
	s_cselect_b64 vcc, -1, 0
	v_cndmask_b32_e32 v4, v0, v2, vcc
	v_cndmask_b32_e32 v5, v1, v3, vcc
	;; [unrolled: 1-line block ×4, first 2 shown]
	v_mul_lo_u32 v5, v5, s2
	v_mul_lo_u32 v8, v4, s3
	v_mad_u64_u32 v[2:3], s[0:1], v4, s2, 0
	v_add3_u32 v3, v3, v8, v5
	v_lshlrev_b64 v[2:3], 1, v[2:3]
	v_add_co_u32_e32 v2, vcc, s14, v2
	v_lshlrev_b64 v[0:1], 1, v[0:1]
	v_addc_co_u32_e32 v3, vcc, v7, v3, vcc
	v_add_co_u32_e32 v0, vcc, v2, v0
	v_addc_co_u32_e32 v1, vcc, v3, v1, vcc
	s_waitcnt vmcnt(0)
	global_store_short v[0:1], v6, off
.LBB7_2:
	s_endpgm
	.section	.rodata,"a",@progbits
	.p2align	6, 0x0
	.amdhsa_kernel _ZN9rocsparseL16coo2dense_kernelILj512El18rocsparse_bfloat16EEvT0_S2_ll21rocsparse_index_base_PKT1_PKS2_S8_PS4_16rocsparse_order_
		.amdhsa_group_segment_fixed_size 0
		.amdhsa_private_segment_fixed_size 0
		.amdhsa_kernarg_size 76
		.amdhsa_user_sgpr_count 6
		.amdhsa_user_sgpr_private_segment_buffer 1
		.amdhsa_user_sgpr_dispatch_ptr 0
		.amdhsa_user_sgpr_queue_ptr 0
		.amdhsa_user_sgpr_kernarg_segment_ptr 1
		.amdhsa_user_sgpr_dispatch_id 0
		.amdhsa_user_sgpr_flat_scratch_init 0
		.amdhsa_user_sgpr_kernarg_preload_length 0
		.amdhsa_user_sgpr_kernarg_preload_offset 0
		.amdhsa_user_sgpr_private_segment_size 0
		.amdhsa_uses_dynamic_stack 0
		.amdhsa_system_sgpr_private_segment_wavefront_offset 0
		.amdhsa_system_sgpr_workgroup_id_x 1
		.amdhsa_system_sgpr_workgroup_id_y 0
		.amdhsa_system_sgpr_workgroup_id_z 0
		.amdhsa_system_sgpr_workgroup_info 0
		.amdhsa_system_vgpr_workitem_id 0
		.amdhsa_next_free_vgpr 9
		.amdhsa_next_free_sgpr 16
		.amdhsa_accum_offset 12
		.amdhsa_reserve_vcc 1
		.amdhsa_reserve_flat_scratch 0
		.amdhsa_float_round_mode_32 0
		.amdhsa_float_round_mode_16_64 0
		.amdhsa_float_denorm_mode_32 3
		.amdhsa_float_denorm_mode_16_64 3
		.amdhsa_dx10_clamp 1
		.amdhsa_ieee_mode 1
		.amdhsa_fp16_overflow 0
		.amdhsa_tg_split 0
		.amdhsa_exception_fp_ieee_invalid_op 0
		.amdhsa_exception_fp_denorm_src 0
		.amdhsa_exception_fp_ieee_div_zero 0
		.amdhsa_exception_fp_ieee_overflow 0
		.amdhsa_exception_fp_ieee_underflow 0
		.amdhsa_exception_fp_ieee_inexact 0
		.amdhsa_exception_int_div_zero 0
	.end_amdhsa_kernel
	.section	.text._ZN9rocsparseL16coo2dense_kernelILj512El18rocsparse_bfloat16EEvT0_S2_ll21rocsparse_index_base_PKT1_PKS2_S8_PS4_16rocsparse_order_,"axG",@progbits,_ZN9rocsparseL16coo2dense_kernelILj512El18rocsparse_bfloat16EEvT0_S2_ll21rocsparse_index_base_PKT1_PKS2_S8_PS4_16rocsparse_order_,comdat
.Lfunc_end7:
	.size	_ZN9rocsparseL16coo2dense_kernelILj512El18rocsparse_bfloat16EEvT0_S2_ll21rocsparse_index_base_PKT1_PKS2_S8_PS4_16rocsparse_order_, .Lfunc_end7-_ZN9rocsparseL16coo2dense_kernelILj512El18rocsparse_bfloat16EEvT0_S2_ll21rocsparse_index_base_PKT1_PKS2_S8_PS4_16rocsparse_order_
                                        ; -- End function
	.section	.AMDGPU.csdata,"",@progbits
; Kernel info:
; codeLenInByte = 276
; NumSgprs: 20
; NumVgprs: 9
; NumAgprs: 0
; TotalNumVgprs: 9
; ScratchSize: 0
; MemoryBound: 0
; FloatMode: 240
; IeeeMode: 1
; LDSByteSize: 0 bytes/workgroup (compile time only)
; SGPRBlocks: 2
; VGPRBlocks: 1
; NumSGPRsForWavesPerEU: 20
; NumVGPRsForWavesPerEU: 9
; AccumOffset: 12
; Occupancy: 8
; WaveLimiterHint : 1
; COMPUTE_PGM_RSRC2:SCRATCH_EN: 0
; COMPUTE_PGM_RSRC2:USER_SGPR: 6
; COMPUTE_PGM_RSRC2:TRAP_HANDLER: 0
; COMPUTE_PGM_RSRC2:TGID_X_EN: 1
; COMPUTE_PGM_RSRC2:TGID_Y_EN: 0
; COMPUTE_PGM_RSRC2:TGID_Z_EN: 0
; COMPUTE_PGM_RSRC2:TIDIG_COMP_CNT: 0
; COMPUTE_PGM_RSRC3_GFX90A:ACCUM_OFFSET: 2
; COMPUTE_PGM_RSRC3_GFX90A:TG_SPLIT: 0
	.section	.text._ZN9rocsparseL16coo2dense_kernelILj512ElfEEvT0_S1_ll21rocsparse_index_base_PKT1_PKS1_S7_PS3_16rocsparse_order_,"axG",@progbits,_ZN9rocsparseL16coo2dense_kernelILj512ElfEEvT0_S1_ll21rocsparse_index_base_PKT1_PKS1_S7_PS3_16rocsparse_order_,comdat
	.globl	_ZN9rocsparseL16coo2dense_kernelILj512ElfEEvT0_S1_ll21rocsparse_index_base_PKT1_PKS1_S7_PS3_16rocsparse_order_ ; -- Begin function _ZN9rocsparseL16coo2dense_kernelILj512ElfEEvT0_S1_ll21rocsparse_index_base_PKT1_PKS1_S7_PS3_16rocsparse_order_
	.p2align	8
	.type	_ZN9rocsparseL16coo2dense_kernelILj512ElfEEvT0_S1_ll21rocsparse_index_base_PKT1_PKS1_S7_PS3_16rocsparse_order_,@function
_ZN9rocsparseL16coo2dense_kernelILj512ElfEEvT0_S1_ll21rocsparse_index_base_PKT1_PKS1_S7_PS3_16rocsparse_order_: ; @_ZN9rocsparseL16coo2dense_kernelILj512ElfEEvT0_S1_ll21rocsparse_index_base_PKT1_PKS1_S7_PS3_16rocsparse_order_
; %bb.0:
	s_load_dwordx4 s[0:3], s[4:5], 0x10
	v_lshl_or_b32 v0, s6, 9, v0
	v_mov_b32_e32 v1, 0
	s_waitcnt lgkmcnt(0)
	v_cmp_gt_i64_e32 vcc, s[0:1], v[0:1]
	s_and_saveexec_b64 s[0:1], vcc
	s_cbranch_execz .LBB8_2
; %bb.1:
	s_load_dwordx8 s[8:15], s[4:5], 0x28
	v_lshlrev_b64 v[2:3], 3, v[0:1]
	v_lshlrev_b64 v[0:1], 2, v[0:1]
	s_waitcnt lgkmcnt(0)
	v_mov_b32_e32 v5, s11
	v_add_co_u32_e32 v4, vcc, s10, v2
	v_addc_co_u32_e32 v5, vcc, v5, v3, vcc
	global_load_dwordx2 v[4:5], v[4:5], off
	v_mov_b32_e32 v6, s13
	v_add_co_u32_e32 v2, vcc, s12, v2
	v_addc_co_u32_e32 v3, vcc, v6, v3, vcc
	global_load_dwordx2 v[2:3], v[2:3], off
	v_mov_b32_e32 v6, s9
	v_add_co_u32_e32 v0, vcc, s8, v0
	v_addc_co_u32_e32 v1, vcc, v6, v1, vcc
	global_load_dword v6, v[0:1], off
	s_load_dword s0, s[4:5], 0x48
	s_load_dword s1, s[4:5], 0x20
	v_mov_b32_e32 v7, s15
	s_waitcnt lgkmcnt(0)
	s_cmp_eq_u32 s0, 1
	s_waitcnt vmcnt(2)
	v_subrev_co_u32_e32 v0, vcc, s1, v4
	v_subbrev_co_u32_e32 v1, vcc, 0, v5, vcc
	s_waitcnt vmcnt(1)
	v_subrev_co_u32_e32 v2, vcc, s1, v2
	v_subbrev_co_u32_e32 v3, vcc, 0, v3, vcc
	s_cselect_b64 vcc, -1, 0
	v_cndmask_b32_e32 v4, v0, v2, vcc
	v_cndmask_b32_e32 v5, v1, v3, vcc
	;; [unrolled: 1-line block ×4, first 2 shown]
	v_mul_lo_u32 v5, v5, s2
	v_mul_lo_u32 v8, v4, s3
	v_mad_u64_u32 v[2:3], s[0:1], v4, s2, 0
	v_add3_u32 v3, v3, v8, v5
	v_lshlrev_b64 v[2:3], 2, v[2:3]
	v_add_co_u32_e32 v2, vcc, s14, v2
	v_lshlrev_b64 v[0:1], 2, v[0:1]
	v_addc_co_u32_e32 v3, vcc, v7, v3, vcc
	v_add_co_u32_e32 v0, vcc, v2, v0
	v_addc_co_u32_e32 v1, vcc, v3, v1, vcc
	s_waitcnt vmcnt(0)
	global_store_dword v[0:1], v6, off
.LBB8_2:
	s_endpgm
	.section	.rodata,"a",@progbits
	.p2align	6, 0x0
	.amdhsa_kernel _ZN9rocsparseL16coo2dense_kernelILj512ElfEEvT0_S1_ll21rocsparse_index_base_PKT1_PKS1_S7_PS3_16rocsparse_order_
		.amdhsa_group_segment_fixed_size 0
		.amdhsa_private_segment_fixed_size 0
		.amdhsa_kernarg_size 76
		.amdhsa_user_sgpr_count 6
		.amdhsa_user_sgpr_private_segment_buffer 1
		.amdhsa_user_sgpr_dispatch_ptr 0
		.amdhsa_user_sgpr_queue_ptr 0
		.amdhsa_user_sgpr_kernarg_segment_ptr 1
		.amdhsa_user_sgpr_dispatch_id 0
		.amdhsa_user_sgpr_flat_scratch_init 0
		.amdhsa_user_sgpr_kernarg_preload_length 0
		.amdhsa_user_sgpr_kernarg_preload_offset 0
		.amdhsa_user_sgpr_private_segment_size 0
		.amdhsa_uses_dynamic_stack 0
		.amdhsa_system_sgpr_private_segment_wavefront_offset 0
		.amdhsa_system_sgpr_workgroup_id_x 1
		.amdhsa_system_sgpr_workgroup_id_y 0
		.amdhsa_system_sgpr_workgroup_id_z 0
		.amdhsa_system_sgpr_workgroup_info 0
		.amdhsa_system_vgpr_workitem_id 0
		.amdhsa_next_free_vgpr 9
		.amdhsa_next_free_sgpr 16
		.amdhsa_accum_offset 12
		.amdhsa_reserve_vcc 1
		.amdhsa_reserve_flat_scratch 0
		.amdhsa_float_round_mode_32 0
		.amdhsa_float_round_mode_16_64 0
		.amdhsa_float_denorm_mode_32 3
		.amdhsa_float_denorm_mode_16_64 3
		.amdhsa_dx10_clamp 1
		.amdhsa_ieee_mode 1
		.amdhsa_fp16_overflow 0
		.amdhsa_tg_split 0
		.amdhsa_exception_fp_ieee_invalid_op 0
		.amdhsa_exception_fp_denorm_src 0
		.amdhsa_exception_fp_ieee_div_zero 0
		.amdhsa_exception_fp_ieee_overflow 0
		.amdhsa_exception_fp_ieee_underflow 0
		.amdhsa_exception_fp_ieee_inexact 0
		.amdhsa_exception_int_div_zero 0
	.end_amdhsa_kernel
	.section	.text._ZN9rocsparseL16coo2dense_kernelILj512ElfEEvT0_S1_ll21rocsparse_index_base_PKT1_PKS1_S7_PS3_16rocsparse_order_,"axG",@progbits,_ZN9rocsparseL16coo2dense_kernelILj512ElfEEvT0_S1_ll21rocsparse_index_base_PKT1_PKS1_S7_PS3_16rocsparse_order_,comdat
.Lfunc_end8:
	.size	_ZN9rocsparseL16coo2dense_kernelILj512ElfEEvT0_S1_ll21rocsparse_index_base_PKT1_PKS1_S7_PS3_16rocsparse_order_, .Lfunc_end8-_ZN9rocsparseL16coo2dense_kernelILj512ElfEEvT0_S1_ll21rocsparse_index_base_PKT1_PKS1_S7_PS3_16rocsparse_order_
                                        ; -- End function
	.section	.AMDGPU.csdata,"",@progbits
; Kernel info:
; codeLenInByte = 276
; NumSgprs: 20
; NumVgprs: 9
; NumAgprs: 0
; TotalNumVgprs: 9
; ScratchSize: 0
; MemoryBound: 0
; FloatMode: 240
; IeeeMode: 1
; LDSByteSize: 0 bytes/workgroup (compile time only)
; SGPRBlocks: 2
; VGPRBlocks: 1
; NumSGPRsForWavesPerEU: 20
; NumVGPRsForWavesPerEU: 9
; AccumOffset: 12
; Occupancy: 8
; WaveLimiterHint : 1
; COMPUTE_PGM_RSRC2:SCRATCH_EN: 0
; COMPUTE_PGM_RSRC2:USER_SGPR: 6
; COMPUTE_PGM_RSRC2:TRAP_HANDLER: 0
; COMPUTE_PGM_RSRC2:TGID_X_EN: 1
; COMPUTE_PGM_RSRC2:TGID_Y_EN: 0
; COMPUTE_PGM_RSRC2:TGID_Z_EN: 0
; COMPUTE_PGM_RSRC2:TIDIG_COMP_CNT: 0
; COMPUTE_PGM_RSRC3_GFX90A:ACCUM_OFFSET: 2
; COMPUTE_PGM_RSRC3_GFX90A:TG_SPLIT: 0
	.section	.text._ZN9rocsparseL16coo2dense_kernelILj512EldEEvT0_S1_ll21rocsparse_index_base_PKT1_PKS1_S7_PS3_16rocsparse_order_,"axG",@progbits,_ZN9rocsparseL16coo2dense_kernelILj512EldEEvT0_S1_ll21rocsparse_index_base_PKT1_PKS1_S7_PS3_16rocsparse_order_,comdat
	.globl	_ZN9rocsparseL16coo2dense_kernelILj512EldEEvT0_S1_ll21rocsparse_index_base_PKT1_PKS1_S7_PS3_16rocsparse_order_ ; -- Begin function _ZN9rocsparseL16coo2dense_kernelILj512EldEEvT0_S1_ll21rocsparse_index_base_PKT1_PKS1_S7_PS3_16rocsparse_order_
	.p2align	8
	.type	_ZN9rocsparseL16coo2dense_kernelILj512EldEEvT0_S1_ll21rocsparse_index_base_PKT1_PKS1_S7_PS3_16rocsparse_order_,@function
_ZN9rocsparseL16coo2dense_kernelILj512EldEEvT0_S1_ll21rocsparse_index_base_PKT1_PKS1_S7_PS3_16rocsparse_order_: ; @_ZN9rocsparseL16coo2dense_kernelILj512EldEEvT0_S1_ll21rocsparse_index_base_PKT1_PKS1_S7_PS3_16rocsparse_order_
; %bb.0:
	s_load_dwordx4 s[0:3], s[4:5], 0x10
	v_lshl_or_b32 v0, s6, 9, v0
	v_mov_b32_e32 v1, 0
	s_waitcnt lgkmcnt(0)
	v_cmp_gt_i64_e32 vcc, s[0:1], v[0:1]
	s_and_saveexec_b64 s[0:1], vcc
	s_cbranch_execz .LBB9_2
; %bb.1:
	s_load_dwordx8 s[8:15], s[4:5], 0x28
	v_lshlrev_b64 v[0:1], 3, v[0:1]
	s_waitcnt lgkmcnt(0)
	v_mov_b32_e32 v3, s11
	v_add_co_u32_e32 v2, vcc, s10, v0
	v_addc_co_u32_e32 v3, vcc, v3, v1, vcc
	global_load_dwordx2 v[2:3], v[2:3], off
	v_mov_b32_e32 v5, s13
	v_add_co_u32_e32 v4, vcc, s12, v0
	v_addc_co_u32_e32 v5, vcc, v5, v1, vcc
	global_load_dwordx2 v[4:5], v[4:5], off
	v_mov_b32_e32 v6, s9
	v_add_co_u32_e32 v0, vcc, s8, v0
	v_addc_co_u32_e32 v1, vcc, v6, v1, vcc
	global_load_dwordx2 v[0:1], v[0:1], off
	s_load_dword s0, s[4:5], 0x48
	s_load_dword s1, s[4:5], 0x20
	v_mov_b32_e32 v6, s15
	s_waitcnt lgkmcnt(0)
	s_cmp_eq_u32 s0, 1
	s_waitcnt vmcnt(2)
	v_subrev_co_u32_e32 v2, vcc, s1, v2
	v_subbrev_co_u32_e32 v3, vcc, 0, v3, vcc
	s_waitcnt vmcnt(1)
	v_subrev_co_u32_e32 v4, vcc, s1, v4
	v_subbrev_co_u32_e32 v5, vcc, 0, v5, vcc
	s_cselect_b64 vcc, -1, 0
	v_cndmask_b32_e32 v7, v2, v4, vcc
	v_cndmask_b32_e32 v8, v3, v5, vcc
	;; [unrolled: 1-line block ×4, first 2 shown]
	v_mul_lo_u32 v8, v8, s2
	v_mul_lo_u32 v9, v7, s3
	v_mad_u64_u32 v[4:5], s[0:1], v7, s2, 0
	v_add3_u32 v5, v5, v9, v8
	v_lshlrev_b64 v[4:5], 3, v[4:5]
	v_add_co_u32_e32 v4, vcc, s14, v4
	v_lshlrev_b64 v[2:3], 3, v[2:3]
	v_addc_co_u32_e32 v5, vcc, v6, v5, vcc
	v_add_co_u32_e32 v2, vcc, v4, v2
	v_addc_co_u32_e32 v3, vcc, v5, v3, vcc
	s_waitcnt vmcnt(0)
	global_store_dwordx2 v[2:3], v[0:1], off
.LBB9_2:
	s_endpgm
	.section	.rodata,"a",@progbits
	.p2align	6, 0x0
	.amdhsa_kernel _ZN9rocsparseL16coo2dense_kernelILj512EldEEvT0_S1_ll21rocsparse_index_base_PKT1_PKS1_S7_PS3_16rocsparse_order_
		.amdhsa_group_segment_fixed_size 0
		.amdhsa_private_segment_fixed_size 0
		.amdhsa_kernarg_size 76
		.amdhsa_user_sgpr_count 6
		.amdhsa_user_sgpr_private_segment_buffer 1
		.amdhsa_user_sgpr_dispatch_ptr 0
		.amdhsa_user_sgpr_queue_ptr 0
		.amdhsa_user_sgpr_kernarg_segment_ptr 1
		.amdhsa_user_sgpr_dispatch_id 0
		.amdhsa_user_sgpr_flat_scratch_init 0
		.amdhsa_user_sgpr_kernarg_preload_length 0
		.amdhsa_user_sgpr_kernarg_preload_offset 0
		.amdhsa_user_sgpr_private_segment_size 0
		.amdhsa_uses_dynamic_stack 0
		.amdhsa_system_sgpr_private_segment_wavefront_offset 0
		.amdhsa_system_sgpr_workgroup_id_x 1
		.amdhsa_system_sgpr_workgroup_id_y 0
		.amdhsa_system_sgpr_workgroup_id_z 0
		.amdhsa_system_sgpr_workgroup_info 0
		.amdhsa_system_vgpr_workitem_id 0
		.amdhsa_next_free_vgpr 10
		.amdhsa_next_free_sgpr 16
		.amdhsa_accum_offset 12
		.amdhsa_reserve_vcc 1
		.amdhsa_reserve_flat_scratch 0
		.amdhsa_float_round_mode_32 0
		.amdhsa_float_round_mode_16_64 0
		.amdhsa_float_denorm_mode_32 3
		.amdhsa_float_denorm_mode_16_64 3
		.amdhsa_dx10_clamp 1
		.amdhsa_ieee_mode 1
		.amdhsa_fp16_overflow 0
		.amdhsa_tg_split 0
		.amdhsa_exception_fp_ieee_invalid_op 0
		.amdhsa_exception_fp_denorm_src 0
		.amdhsa_exception_fp_ieee_div_zero 0
		.amdhsa_exception_fp_ieee_overflow 0
		.amdhsa_exception_fp_ieee_underflow 0
		.amdhsa_exception_fp_ieee_inexact 0
		.amdhsa_exception_int_div_zero 0
	.end_amdhsa_kernel
	.section	.text._ZN9rocsparseL16coo2dense_kernelILj512EldEEvT0_S1_ll21rocsparse_index_base_PKT1_PKS1_S7_PS3_16rocsparse_order_,"axG",@progbits,_ZN9rocsparseL16coo2dense_kernelILj512EldEEvT0_S1_ll21rocsparse_index_base_PKT1_PKS1_S7_PS3_16rocsparse_order_,comdat
.Lfunc_end9:
	.size	_ZN9rocsparseL16coo2dense_kernelILj512EldEEvT0_S1_ll21rocsparse_index_base_PKT1_PKS1_S7_PS3_16rocsparse_order_, .Lfunc_end9-_ZN9rocsparseL16coo2dense_kernelILj512EldEEvT0_S1_ll21rocsparse_index_base_PKT1_PKS1_S7_PS3_16rocsparse_order_
                                        ; -- End function
	.section	.AMDGPU.csdata,"",@progbits
; Kernel info:
; codeLenInByte = 268
; NumSgprs: 20
; NumVgprs: 10
; NumAgprs: 0
; TotalNumVgprs: 10
; ScratchSize: 0
; MemoryBound: 0
; FloatMode: 240
; IeeeMode: 1
; LDSByteSize: 0 bytes/workgroup (compile time only)
; SGPRBlocks: 2
; VGPRBlocks: 1
; NumSGPRsForWavesPerEU: 20
; NumVGPRsForWavesPerEU: 10
; AccumOffset: 12
; Occupancy: 8
; WaveLimiterHint : 1
; COMPUTE_PGM_RSRC2:SCRATCH_EN: 0
; COMPUTE_PGM_RSRC2:USER_SGPR: 6
; COMPUTE_PGM_RSRC2:TRAP_HANDLER: 0
; COMPUTE_PGM_RSRC2:TGID_X_EN: 1
; COMPUTE_PGM_RSRC2:TGID_Y_EN: 0
; COMPUTE_PGM_RSRC2:TGID_Z_EN: 0
; COMPUTE_PGM_RSRC2:TIDIG_COMP_CNT: 0
; COMPUTE_PGM_RSRC3_GFX90A:ACCUM_OFFSET: 2
; COMPUTE_PGM_RSRC3_GFX90A:TG_SPLIT: 0
	.section	.text._ZN9rocsparseL16coo2dense_kernelILj512El21rocsparse_complex_numIfEEEvT0_S3_ll21rocsparse_index_base_PKT1_PKS3_S9_PS5_16rocsparse_order_,"axG",@progbits,_ZN9rocsparseL16coo2dense_kernelILj512El21rocsparse_complex_numIfEEEvT0_S3_ll21rocsparse_index_base_PKT1_PKS3_S9_PS5_16rocsparse_order_,comdat
	.globl	_ZN9rocsparseL16coo2dense_kernelILj512El21rocsparse_complex_numIfEEEvT0_S3_ll21rocsparse_index_base_PKT1_PKS3_S9_PS5_16rocsparse_order_ ; -- Begin function _ZN9rocsparseL16coo2dense_kernelILj512El21rocsparse_complex_numIfEEEvT0_S3_ll21rocsparse_index_base_PKT1_PKS3_S9_PS5_16rocsparse_order_
	.p2align	8
	.type	_ZN9rocsparseL16coo2dense_kernelILj512El21rocsparse_complex_numIfEEEvT0_S3_ll21rocsparse_index_base_PKT1_PKS3_S9_PS5_16rocsparse_order_,@function
_ZN9rocsparseL16coo2dense_kernelILj512El21rocsparse_complex_numIfEEEvT0_S3_ll21rocsparse_index_base_PKT1_PKS3_S9_PS5_16rocsparse_order_: ; @_ZN9rocsparseL16coo2dense_kernelILj512El21rocsparse_complex_numIfEEEvT0_S3_ll21rocsparse_index_base_PKT1_PKS3_S9_PS5_16rocsparse_order_
; %bb.0:
	s_load_dwordx4 s[0:3], s[4:5], 0x10
	v_lshl_or_b32 v0, s6, 9, v0
	v_mov_b32_e32 v1, 0
	s_waitcnt lgkmcnt(0)
	v_cmp_gt_i64_e32 vcc, s[0:1], v[0:1]
	s_and_saveexec_b64 s[0:1], vcc
	s_cbranch_execz .LBB10_2
; %bb.1:
	s_load_dwordx8 s[8:15], s[4:5], 0x28
	v_lshlrev_b64 v[0:1], 3, v[0:1]
	s_waitcnt lgkmcnt(0)
	v_mov_b32_e32 v3, s11
	v_add_co_u32_e32 v2, vcc, s10, v0
	v_addc_co_u32_e32 v3, vcc, v3, v1, vcc
	global_load_dwordx2 v[2:3], v[2:3], off
	v_mov_b32_e32 v5, s13
	v_add_co_u32_e32 v4, vcc, s12, v0
	v_addc_co_u32_e32 v5, vcc, v5, v1, vcc
	global_load_dwordx2 v[4:5], v[4:5], off
	;; [unrolled: 4-line block ×3, first 2 shown]
	s_load_dword s0, s[4:5], 0x48
	s_load_dword s1, s[4:5], 0x20
	v_mov_b32_e32 v6, s15
	s_waitcnt lgkmcnt(0)
	s_cmp_eq_u32 s0, 1
	s_waitcnt vmcnt(2)
	v_subrev_co_u32_e32 v2, vcc, s1, v2
	v_subbrev_co_u32_e32 v3, vcc, 0, v3, vcc
	s_waitcnt vmcnt(1)
	v_subrev_co_u32_e32 v4, vcc, s1, v4
	v_subbrev_co_u32_e32 v5, vcc, 0, v5, vcc
	s_cselect_b64 vcc, -1, 0
	v_cndmask_b32_e32 v7, v2, v4, vcc
	v_cndmask_b32_e32 v8, v3, v5, vcc
	;; [unrolled: 1-line block ×4, first 2 shown]
	v_mul_lo_u32 v8, v8, s2
	v_mul_lo_u32 v9, v7, s3
	v_mad_u64_u32 v[4:5], s[0:1], v7, s2, 0
	v_add3_u32 v5, v5, v9, v8
	v_lshlrev_b64 v[4:5], 3, v[4:5]
	v_add_co_u32_e32 v4, vcc, s14, v4
	v_lshlrev_b64 v[2:3], 3, v[2:3]
	v_addc_co_u32_e32 v5, vcc, v6, v5, vcc
	v_add_co_u32_e32 v2, vcc, v4, v2
	v_addc_co_u32_e32 v3, vcc, v5, v3, vcc
	s_waitcnt vmcnt(0)
	global_store_dwordx2 v[2:3], v[0:1], off
.LBB10_2:
	s_endpgm
	.section	.rodata,"a",@progbits
	.p2align	6, 0x0
	.amdhsa_kernel _ZN9rocsparseL16coo2dense_kernelILj512El21rocsparse_complex_numIfEEEvT0_S3_ll21rocsparse_index_base_PKT1_PKS3_S9_PS5_16rocsparse_order_
		.amdhsa_group_segment_fixed_size 0
		.amdhsa_private_segment_fixed_size 0
		.amdhsa_kernarg_size 76
		.amdhsa_user_sgpr_count 6
		.amdhsa_user_sgpr_private_segment_buffer 1
		.amdhsa_user_sgpr_dispatch_ptr 0
		.amdhsa_user_sgpr_queue_ptr 0
		.amdhsa_user_sgpr_kernarg_segment_ptr 1
		.amdhsa_user_sgpr_dispatch_id 0
		.amdhsa_user_sgpr_flat_scratch_init 0
		.amdhsa_user_sgpr_kernarg_preload_length 0
		.amdhsa_user_sgpr_kernarg_preload_offset 0
		.amdhsa_user_sgpr_private_segment_size 0
		.amdhsa_uses_dynamic_stack 0
		.amdhsa_system_sgpr_private_segment_wavefront_offset 0
		.amdhsa_system_sgpr_workgroup_id_x 1
		.amdhsa_system_sgpr_workgroup_id_y 0
		.amdhsa_system_sgpr_workgroup_id_z 0
		.amdhsa_system_sgpr_workgroup_info 0
		.amdhsa_system_vgpr_workitem_id 0
		.amdhsa_next_free_vgpr 10
		.amdhsa_next_free_sgpr 16
		.amdhsa_accum_offset 12
		.amdhsa_reserve_vcc 1
		.amdhsa_reserve_flat_scratch 0
		.amdhsa_float_round_mode_32 0
		.amdhsa_float_round_mode_16_64 0
		.amdhsa_float_denorm_mode_32 3
		.amdhsa_float_denorm_mode_16_64 3
		.amdhsa_dx10_clamp 1
		.amdhsa_ieee_mode 1
		.amdhsa_fp16_overflow 0
		.amdhsa_tg_split 0
		.amdhsa_exception_fp_ieee_invalid_op 0
		.amdhsa_exception_fp_denorm_src 0
		.amdhsa_exception_fp_ieee_div_zero 0
		.amdhsa_exception_fp_ieee_overflow 0
		.amdhsa_exception_fp_ieee_underflow 0
		.amdhsa_exception_fp_ieee_inexact 0
		.amdhsa_exception_int_div_zero 0
	.end_amdhsa_kernel
	.section	.text._ZN9rocsparseL16coo2dense_kernelILj512El21rocsparse_complex_numIfEEEvT0_S3_ll21rocsparse_index_base_PKT1_PKS3_S9_PS5_16rocsparse_order_,"axG",@progbits,_ZN9rocsparseL16coo2dense_kernelILj512El21rocsparse_complex_numIfEEEvT0_S3_ll21rocsparse_index_base_PKT1_PKS3_S9_PS5_16rocsparse_order_,comdat
.Lfunc_end10:
	.size	_ZN9rocsparseL16coo2dense_kernelILj512El21rocsparse_complex_numIfEEEvT0_S3_ll21rocsparse_index_base_PKT1_PKS3_S9_PS5_16rocsparse_order_, .Lfunc_end10-_ZN9rocsparseL16coo2dense_kernelILj512El21rocsparse_complex_numIfEEEvT0_S3_ll21rocsparse_index_base_PKT1_PKS3_S9_PS5_16rocsparse_order_
                                        ; -- End function
	.section	.AMDGPU.csdata,"",@progbits
; Kernel info:
; codeLenInByte = 268
; NumSgprs: 20
; NumVgprs: 10
; NumAgprs: 0
; TotalNumVgprs: 10
; ScratchSize: 0
; MemoryBound: 0
; FloatMode: 240
; IeeeMode: 1
; LDSByteSize: 0 bytes/workgroup (compile time only)
; SGPRBlocks: 2
; VGPRBlocks: 1
; NumSGPRsForWavesPerEU: 20
; NumVGPRsForWavesPerEU: 10
; AccumOffset: 12
; Occupancy: 8
; WaveLimiterHint : 1
; COMPUTE_PGM_RSRC2:SCRATCH_EN: 0
; COMPUTE_PGM_RSRC2:USER_SGPR: 6
; COMPUTE_PGM_RSRC2:TRAP_HANDLER: 0
; COMPUTE_PGM_RSRC2:TGID_X_EN: 1
; COMPUTE_PGM_RSRC2:TGID_Y_EN: 0
; COMPUTE_PGM_RSRC2:TGID_Z_EN: 0
; COMPUTE_PGM_RSRC2:TIDIG_COMP_CNT: 0
; COMPUTE_PGM_RSRC3_GFX90A:ACCUM_OFFSET: 2
; COMPUTE_PGM_RSRC3_GFX90A:TG_SPLIT: 0
	.section	.text._ZN9rocsparseL16coo2dense_kernelILj512El21rocsparse_complex_numIdEEEvT0_S3_ll21rocsparse_index_base_PKT1_PKS3_S9_PS5_16rocsparse_order_,"axG",@progbits,_ZN9rocsparseL16coo2dense_kernelILj512El21rocsparse_complex_numIdEEEvT0_S3_ll21rocsparse_index_base_PKT1_PKS3_S9_PS5_16rocsparse_order_,comdat
	.globl	_ZN9rocsparseL16coo2dense_kernelILj512El21rocsparse_complex_numIdEEEvT0_S3_ll21rocsparse_index_base_PKT1_PKS3_S9_PS5_16rocsparse_order_ ; -- Begin function _ZN9rocsparseL16coo2dense_kernelILj512El21rocsparse_complex_numIdEEEvT0_S3_ll21rocsparse_index_base_PKT1_PKS3_S9_PS5_16rocsparse_order_
	.p2align	8
	.type	_ZN9rocsparseL16coo2dense_kernelILj512El21rocsparse_complex_numIdEEEvT0_S3_ll21rocsparse_index_base_PKT1_PKS3_S9_PS5_16rocsparse_order_,@function
_ZN9rocsparseL16coo2dense_kernelILj512El21rocsparse_complex_numIdEEEvT0_S3_ll21rocsparse_index_base_PKT1_PKS3_S9_PS5_16rocsparse_order_: ; @_ZN9rocsparseL16coo2dense_kernelILj512El21rocsparse_complex_numIdEEEvT0_S3_ll21rocsparse_index_base_PKT1_PKS3_S9_PS5_16rocsparse_order_
; %bb.0:
	s_load_dwordx4 s[0:3], s[4:5], 0x10
	v_lshl_or_b32 v0, s6, 9, v0
	v_mov_b32_e32 v1, 0
	s_waitcnt lgkmcnt(0)
	v_cmp_gt_i64_e32 vcc, s[0:1], v[0:1]
	s_and_saveexec_b64 s[0:1], vcc
	s_cbranch_execz .LBB11_2
; %bb.1:
	s_load_dwordx8 s[8:15], s[4:5], 0x28
	v_lshlrev_b64 v[2:3], 3, v[0:1]
	v_lshlrev_b64 v[0:1], 4, v[0:1]
	s_waitcnt lgkmcnt(0)
	v_mov_b32_e32 v5, s11
	v_add_co_u32_e32 v4, vcc, s10, v2
	v_addc_co_u32_e32 v5, vcc, v5, v3, vcc
	global_load_dwordx2 v[4:5], v[4:5], off
	v_mov_b32_e32 v6, s13
	v_add_co_u32_e32 v2, vcc, s12, v2
	v_addc_co_u32_e32 v3, vcc, v6, v3, vcc
	global_load_dwordx2 v[6:7], v[2:3], off
	v_mov_b32_e32 v2, s9
	v_add_co_u32_e32 v0, vcc, s8, v0
	v_addc_co_u32_e32 v1, vcc, v2, v1, vcc
	global_load_dwordx4 v[0:3], v[0:1], off
	s_load_dword s0, s[4:5], 0x48
	s_load_dword s1, s[4:5], 0x20
	v_mov_b32_e32 v8, s15
	s_waitcnt lgkmcnt(0)
	s_cmp_eq_u32 s0, 1
	s_waitcnt vmcnt(2)
	v_subrev_co_u32_e32 v4, vcc, s1, v4
	v_subbrev_co_u32_e32 v5, vcc, 0, v5, vcc
	s_waitcnt vmcnt(1)
	v_subrev_co_u32_e32 v6, vcc, s1, v6
	v_subbrev_co_u32_e32 v7, vcc, 0, v7, vcc
	s_cselect_b64 vcc, -1, 0
	v_cndmask_b32_e32 v9, v4, v6, vcc
	v_cndmask_b32_e32 v10, v5, v7, vcc
	;; [unrolled: 1-line block ×4, first 2 shown]
	v_mul_lo_u32 v10, v10, s2
	v_mul_lo_u32 v11, v9, s3
	v_mad_u64_u32 v[6:7], s[0:1], v9, s2, 0
	v_add3_u32 v7, v7, v11, v10
	v_lshlrev_b64 v[6:7], 4, v[6:7]
	v_add_co_u32_e32 v6, vcc, s14, v6
	v_lshlrev_b64 v[4:5], 4, v[4:5]
	v_addc_co_u32_e32 v7, vcc, v8, v7, vcc
	v_add_co_u32_e32 v4, vcc, v6, v4
	v_addc_co_u32_e32 v5, vcc, v7, v5, vcc
	s_waitcnt vmcnt(0)
	global_store_dwordx4 v[4:5], v[0:3], off
.LBB11_2:
	s_endpgm
	.section	.rodata,"a",@progbits
	.p2align	6, 0x0
	.amdhsa_kernel _ZN9rocsparseL16coo2dense_kernelILj512El21rocsparse_complex_numIdEEEvT0_S3_ll21rocsparse_index_base_PKT1_PKS3_S9_PS5_16rocsparse_order_
		.amdhsa_group_segment_fixed_size 0
		.amdhsa_private_segment_fixed_size 0
		.amdhsa_kernarg_size 76
		.amdhsa_user_sgpr_count 6
		.amdhsa_user_sgpr_private_segment_buffer 1
		.amdhsa_user_sgpr_dispatch_ptr 0
		.amdhsa_user_sgpr_queue_ptr 0
		.amdhsa_user_sgpr_kernarg_segment_ptr 1
		.amdhsa_user_sgpr_dispatch_id 0
		.amdhsa_user_sgpr_flat_scratch_init 0
		.amdhsa_user_sgpr_kernarg_preload_length 0
		.amdhsa_user_sgpr_kernarg_preload_offset 0
		.amdhsa_user_sgpr_private_segment_size 0
		.amdhsa_uses_dynamic_stack 0
		.amdhsa_system_sgpr_private_segment_wavefront_offset 0
		.amdhsa_system_sgpr_workgroup_id_x 1
		.amdhsa_system_sgpr_workgroup_id_y 0
		.amdhsa_system_sgpr_workgroup_id_z 0
		.amdhsa_system_sgpr_workgroup_info 0
		.amdhsa_system_vgpr_workitem_id 0
		.amdhsa_next_free_vgpr 12
		.amdhsa_next_free_sgpr 16
		.amdhsa_accum_offset 12
		.amdhsa_reserve_vcc 1
		.amdhsa_reserve_flat_scratch 0
		.amdhsa_float_round_mode_32 0
		.amdhsa_float_round_mode_16_64 0
		.amdhsa_float_denorm_mode_32 3
		.amdhsa_float_denorm_mode_16_64 3
		.amdhsa_dx10_clamp 1
		.amdhsa_ieee_mode 1
		.amdhsa_fp16_overflow 0
		.amdhsa_tg_split 0
		.amdhsa_exception_fp_ieee_invalid_op 0
		.amdhsa_exception_fp_denorm_src 0
		.amdhsa_exception_fp_ieee_div_zero 0
		.amdhsa_exception_fp_ieee_overflow 0
		.amdhsa_exception_fp_ieee_underflow 0
		.amdhsa_exception_fp_ieee_inexact 0
		.amdhsa_exception_int_div_zero 0
	.end_amdhsa_kernel
	.section	.text._ZN9rocsparseL16coo2dense_kernelILj512El21rocsparse_complex_numIdEEEvT0_S3_ll21rocsparse_index_base_PKT1_PKS3_S9_PS5_16rocsparse_order_,"axG",@progbits,_ZN9rocsparseL16coo2dense_kernelILj512El21rocsparse_complex_numIdEEEvT0_S3_ll21rocsparse_index_base_PKT1_PKS3_S9_PS5_16rocsparse_order_,comdat
.Lfunc_end11:
	.size	_ZN9rocsparseL16coo2dense_kernelILj512El21rocsparse_complex_numIdEEEvT0_S3_ll21rocsparse_index_base_PKT1_PKS3_S9_PS5_16rocsparse_order_, .Lfunc_end11-_ZN9rocsparseL16coo2dense_kernelILj512El21rocsparse_complex_numIdEEEvT0_S3_ll21rocsparse_index_base_PKT1_PKS3_S9_PS5_16rocsparse_order_
                                        ; -- End function
	.section	.AMDGPU.csdata,"",@progbits
; Kernel info:
; codeLenInByte = 276
; NumSgprs: 20
; NumVgprs: 12
; NumAgprs: 0
; TotalNumVgprs: 12
; ScratchSize: 0
; MemoryBound: 0
; FloatMode: 240
; IeeeMode: 1
; LDSByteSize: 0 bytes/workgroup (compile time only)
; SGPRBlocks: 2
; VGPRBlocks: 1
; NumSGPRsForWavesPerEU: 20
; NumVGPRsForWavesPerEU: 12
; AccumOffset: 12
; Occupancy: 8
; WaveLimiterHint : 1
; COMPUTE_PGM_RSRC2:SCRATCH_EN: 0
; COMPUTE_PGM_RSRC2:USER_SGPR: 6
; COMPUTE_PGM_RSRC2:TRAP_HANDLER: 0
; COMPUTE_PGM_RSRC2:TGID_X_EN: 1
; COMPUTE_PGM_RSRC2:TGID_Y_EN: 0
; COMPUTE_PGM_RSRC2:TGID_Z_EN: 0
; COMPUTE_PGM_RSRC2:TIDIG_COMP_CNT: 0
; COMPUTE_PGM_RSRC3_GFX90A:ACCUM_OFFSET: 2
; COMPUTE_PGM_RSRC3_GFX90A:TG_SPLIT: 0
	.text
	.p2alignl 6, 3212836864
	.fill 256, 4, 3212836864
	.type	__hip_cuid_da5b7892729cc601,@object ; @__hip_cuid_da5b7892729cc601
	.section	.bss,"aw",@nobits
	.globl	__hip_cuid_da5b7892729cc601
__hip_cuid_da5b7892729cc601:
	.byte	0                               ; 0x0
	.size	__hip_cuid_da5b7892729cc601, 1

	.ident	"AMD clang version 19.0.0git (https://github.com/RadeonOpenCompute/llvm-project roc-6.4.0 25133 c7fe45cf4b819c5991fe208aaa96edf142730f1d)"
	.section	".note.GNU-stack","",@progbits
	.addrsig
	.addrsig_sym __hip_cuid_da5b7892729cc601
	.amdgpu_metadata
---
amdhsa.kernels:
  - .agpr_count:     0
    .args:
      - .offset:         0
        .size:           4
        .value_kind:     by_value
      - .offset:         4
        .size:           4
        .value_kind:     by_value
      - .offset:         8
        .size:           8
        .value_kind:     by_value
      - .offset:         16
        .size:           8
        .value_kind:     by_value
      - .offset:         24
        .size:           4
        .value_kind:     by_value
      - .address_space:  global
        .offset:         32
        .size:           8
        .value_kind:     global_buffer
      - .address_space:  global
        .offset:         40
        .size:           8
        .value_kind:     global_buffer
      - .address_space:  global
        .offset:         48
        .size:           8
        .value_kind:     global_buffer
      - .address_space:  global
        .offset:         56
        .size:           8
        .value_kind:     global_buffer
      - .offset:         64
        .size:           4
        .value_kind:     by_value
    .group_segment_fixed_size: 0
    .kernarg_segment_align: 8
    .kernarg_segment_size: 68
    .language:       OpenCL C
    .language_version:
      - 2
      - 0
    .max_flat_workgroup_size: 512
    .name:           _ZN9rocsparseL16coo2dense_kernelILj512EiDF16_EEvT0_S1_ll21rocsparse_index_base_PKT1_PKS1_S7_PS3_16rocsparse_order_
    .private_segment_fixed_size: 0
    .sgpr_count:     20
    .sgpr_spill_count: 0
    .symbol:         _ZN9rocsparseL16coo2dense_kernelILj512EiDF16_EEvT0_S1_ll21rocsparse_index_base_PKT1_PKS1_S7_PS3_16rocsparse_order_.kd
    .uniform_work_group_size: 1
    .uses_dynamic_stack: false
    .vgpr_count:     8
    .vgpr_spill_count: 0
    .wavefront_size: 64
  - .agpr_count:     0
    .args:
      - .offset:         0
        .size:           4
        .value_kind:     by_value
      - .offset:         4
        .size:           4
        .value_kind:     by_value
      - .offset:         8
        .size:           8
        .value_kind:     by_value
      - .offset:         16
        .size:           8
        .value_kind:     by_value
      - .offset:         24
        .size:           4
        .value_kind:     by_value
      - .address_space:  global
        .offset:         32
        .size:           8
        .value_kind:     global_buffer
      - .address_space:  global
        .offset:         40
        .size:           8
        .value_kind:     global_buffer
      - .address_space:  global
        .offset:         48
        .size:           8
        .value_kind:     global_buffer
      - .address_space:  global
        .offset:         56
        .size:           8
        .value_kind:     global_buffer
      - .offset:         64
        .size:           4
        .value_kind:     by_value
    .group_segment_fixed_size: 0
    .kernarg_segment_align: 8
    .kernarg_segment_size: 68
    .language:       OpenCL C
    .language_version:
      - 2
      - 0
    .max_flat_workgroup_size: 512
    .name:           _ZN9rocsparseL16coo2dense_kernelILj512Ei18rocsparse_bfloat16EEvT0_S2_ll21rocsparse_index_base_PKT1_PKS2_S8_PS4_16rocsparse_order_
    .private_segment_fixed_size: 0
    .sgpr_count:     20
    .sgpr_spill_count: 0
    .symbol:         _ZN9rocsparseL16coo2dense_kernelILj512Ei18rocsparse_bfloat16EEvT0_S2_ll21rocsparse_index_base_PKT1_PKS2_S8_PS4_16rocsparse_order_.kd
    .uniform_work_group_size: 1
    .uses_dynamic_stack: false
    .vgpr_count:     8
    .vgpr_spill_count: 0
    .wavefront_size: 64
  - .agpr_count:     0
    .args:
      - .offset:         0
        .size:           4
        .value_kind:     by_value
      - .offset:         4
        .size:           4
        .value_kind:     by_value
      - .offset:         8
        .size:           8
        .value_kind:     by_value
      - .offset:         16
        .size:           8
        .value_kind:     by_value
      - .offset:         24
        .size:           4
        .value_kind:     by_value
      - .address_space:  global
        .offset:         32
        .size:           8
        .value_kind:     global_buffer
      - .address_space:  global
        .offset:         40
        .size:           8
        .value_kind:     global_buffer
      - .address_space:  global
        .offset:         48
        .size:           8
        .value_kind:     global_buffer
      - .address_space:  global
        .offset:         56
        .size:           8
        .value_kind:     global_buffer
      - .offset:         64
        .size:           4
        .value_kind:     by_value
    .group_segment_fixed_size: 0
    .kernarg_segment_align: 8
    .kernarg_segment_size: 68
    .language:       OpenCL C
    .language_version:
      - 2
      - 0
    .max_flat_workgroup_size: 512
    .name:           _ZN9rocsparseL16coo2dense_kernelILj512EifEEvT0_S1_ll21rocsparse_index_base_PKT1_PKS1_S7_PS3_16rocsparse_order_
    .private_segment_fixed_size: 0
    .sgpr_count:     20
    .sgpr_spill_count: 0
    .symbol:         _ZN9rocsparseL16coo2dense_kernelILj512EifEEvT0_S1_ll21rocsparse_index_base_PKT1_PKS1_S7_PS3_16rocsparse_order_.kd
    .uniform_work_group_size: 1
    .uses_dynamic_stack: false
    .vgpr_count:     8
    .vgpr_spill_count: 0
    .wavefront_size: 64
  - .agpr_count:     0
    .args:
      - .offset:         0
        .size:           4
        .value_kind:     by_value
      - .offset:         4
        .size:           4
        .value_kind:     by_value
      - .offset:         8
        .size:           8
        .value_kind:     by_value
      - .offset:         16
        .size:           8
        .value_kind:     by_value
      - .offset:         24
        .size:           4
        .value_kind:     by_value
      - .address_space:  global
        .offset:         32
        .size:           8
        .value_kind:     global_buffer
      - .address_space:  global
        .offset:         40
        .size:           8
        .value_kind:     global_buffer
      - .address_space:  global
        .offset:         48
        .size:           8
        .value_kind:     global_buffer
      - .address_space:  global
        .offset:         56
        .size:           8
        .value_kind:     global_buffer
      - .offset:         64
        .size:           4
        .value_kind:     by_value
    .group_segment_fixed_size: 0
    .kernarg_segment_align: 8
    .kernarg_segment_size: 68
    .language:       OpenCL C
    .language_version:
      - 2
      - 0
    .max_flat_workgroup_size: 512
    .name:           _ZN9rocsparseL16coo2dense_kernelILj512EidEEvT0_S1_ll21rocsparse_index_base_PKT1_PKS1_S7_PS3_16rocsparse_order_
    .private_segment_fixed_size: 0
    .sgpr_count:     20
    .sgpr_spill_count: 0
    .symbol:         _ZN9rocsparseL16coo2dense_kernelILj512EidEEvT0_S1_ll21rocsparse_index_base_PKT1_PKS1_S7_PS3_16rocsparse_order_.kd
    .uniform_work_group_size: 1
    .uses_dynamic_stack: false
    .vgpr_count:     9
    .vgpr_spill_count: 0
    .wavefront_size: 64
  - .agpr_count:     0
    .args:
      - .offset:         0
        .size:           4
        .value_kind:     by_value
      - .offset:         4
        .size:           4
        .value_kind:     by_value
      - .offset:         8
        .size:           8
        .value_kind:     by_value
      - .offset:         16
        .size:           8
        .value_kind:     by_value
      - .offset:         24
        .size:           4
        .value_kind:     by_value
      - .address_space:  global
        .offset:         32
        .size:           8
        .value_kind:     global_buffer
      - .address_space:  global
        .offset:         40
        .size:           8
        .value_kind:     global_buffer
      - .address_space:  global
        .offset:         48
        .size:           8
        .value_kind:     global_buffer
      - .address_space:  global
        .offset:         56
        .size:           8
        .value_kind:     global_buffer
      - .offset:         64
        .size:           4
        .value_kind:     by_value
    .group_segment_fixed_size: 0
    .kernarg_segment_align: 8
    .kernarg_segment_size: 68
    .language:       OpenCL C
    .language_version:
      - 2
      - 0
    .max_flat_workgroup_size: 512
    .name:           _ZN9rocsparseL16coo2dense_kernelILj512Ei21rocsparse_complex_numIfEEEvT0_S3_ll21rocsparse_index_base_PKT1_PKS3_S9_PS5_16rocsparse_order_
    .private_segment_fixed_size: 0
    .sgpr_count:     20
    .sgpr_spill_count: 0
    .symbol:         _ZN9rocsparseL16coo2dense_kernelILj512Ei21rocsparse_complex_numIfEEEvT0_S3_ll21rocsparse_index_base_PKT1_PKS3_S9_PS5_16rocsparse_order_.kd
    .uniform_work_group_size: 1
    .uses_dynamic_stack: false
    .vgpr_count:     9
    .vgpr_spill_count: 0
    .wavefront_size: 64
  - .agpr_count:     0
    .args:
      - .offset:         0
        .size:           4
        .value_kind:     by_value
      - .offset:         4
        .size:           4
        .value_kind:     by_value
      - .offset:         8
        .size:           8
        .value_kind:     by_value
      - .offset:         16
        .size:           8
        .value_kind:     by_value
      - .offset:         24
        .size:           4
        .value_kind:     by_value
      - .address_space:  global
        .offset:         32
        .size:           8
        .value_kind:     global_buffer
      - .address_space:  global
        .offset:         40
        .size:           8
        .value_kind:     global_buffer
      - .address_space:  global
        .offset:         48
        .size:           8
        .value_kind:     global_buffer
      - .address_space:  global
        .offset:         56
        .size:           8
        .value_kind:     global_buffer
      - .offset:         64
        .size:           4
        .value_kind:     by_value
    .group_segment_fixed_size: 0
    .kernarg_segment_align: 8
    .kernarg_segment_size: 68
    .language:       OpenCL C
    .language_version:
      - 2
      - 0
    .max_flat_workgroup_size: 512
    .name:           _ZN9rocsparseL16coo2dense_kernelILj512Ei21rocsparse_complex_numIdEEEvT0_S3_ll21rocsparse_index_base_PKT1_PKS3_S9_PS5_16rocsparse_order_
    .private_segment_fixed_size: 0
    .sgpr_count:     20
    .sgpr_spill_count: 0
    .symbol:         _ZN9rocsparseL16coo2dense_kernelILj512Ei21rocsparse_complex_numIdEEEvT0_S3_ll21rocsparse_index_base_PKT1_PKS3_S9_PS5_16rocsparse_order_.kd
    .uniform_work_group_size: 1
    .uses_dynamic_stack: false
    .vgpr_count:     11
    .vgpr_spill_count: 0
    .wavefront_size: 64
  - .agpr_count:     0
    .args:
      - .offset:         0
        .size:           8
        .value_kind:     by_value
      - .offset:         8
        .size:           8
        .value_kind:     by_value
      - .offset:         16
        .size:           8
        .value_kind:     by_value
      - .offset:         24
        .size:           8
        .value_kind:     by_value
      - .offset:         32
        .size:           4
        .value_kind:     by_value
      - .address_space:  global
        .offset:         40
        .size:           8
        .value_kind:     global_buffer
      - .address_space:  global
        .offset:         48
        .size:           8
        .value_kind:     global_buffer
      - .address_space:  global
        .offset:         56
        .size:           8
        .value_kind:     global_buffer
      - .address_space:  global
        .offset:         64
        .size:           8
        .value_kind:     global_buffer
      - .offset:         72
        .size:           4
        .value_kind:     by_value
    .group_segment_fixed_size: 0
    .kernarg_segment_align: 8
    .kernarg_segment_size: 76
    .language:       OpenCL C
    .language_version:
      - 2
      - 0
    .max_flat_workgroup_size: 512
    .name:           _ZN9rocsparseL16coo2dense_kernelILj512ElDF16_EEvT0_S1_ll21rocsparse_index_base_PKT1_PKS1_S7_PS3_16rocsparse_order_
    .private_segment_fixed_size: 0
    .sgpr_count:     20
    .sgpr_spill_count: 0
    .symbol:         _ZN9rocsparseL16coo2dense_kernelILj512ElDF16_EEvT0_S1_ll21rocsparse_index_base_PKT1_PKS1_S7_PS3_16rocsparse_order_.kd
    .uniform_work_group_size: 1
    .uses_dynamic_stack: false
    .vgpr_count:     9
    .vgpr_spill_count: 0
    .wavefront_size: 64
  - .agpr_count:     0
    .args:
      - .offset:         0
        .size:           8
        .value_kind:     by_value
      - .offset:         8
        .size:           8
        .value_kind:     by_value
      - .offset:         16
        .size:           8
        .value_kind:     by_value
      - .offset:         24
        .size:           8
        .value_kind:     by_value
      - .offset:         32
        .size:           4
        .value_kind:     by_value
      - .address_space:  global
        .offset:         40
        .size:           8
        .value_kind:     global_buffer
      - .address_space:  global
        .offset:         48
        .size:           8
        .value_kind:     global_buffer
      - .address_space:  global
        .offset:         56
        .size:           8
        .value_kind:     global_buffer
      - .address_space:  global
        .offset:         64
        .size:           8
        .value_kind:     global_buffer
      - .offset:         72
        .size:           4
        .value_kind:     by_value
    .group_segment_fixed_size: 0
    .kernarg_segment_align: 8
    .kernarg_segment_size: 76
    .language:       OpenCL C
    .language_version:
      - 2
      - 0
    .max_flat_workgroup_size: 512
    .name:           _ZN9rocsparseL16coo2dense_kernelILj512El18rocsparse_bfloat16EEvT0_S2_ll21rocsparse_index_base_PKT1_PKS2_S8_PS4_16rocsparse_order_
    .private_segment_fixed_size: 0
    .sgpr_count:     20
    .sgpr_spill_count: 0
    .symbol:         _ZN9rocsparseL16coo2dense_kernelILj512El18rocsparse_bfloat16EEvT0_S2_ll21rocsparse_index_base_PKT1_PKS2_S8_PS4_16rocsparse_order_.kd
    .uniform_work_group_size: 1
    .uses_dynamic_stack: false
    .vgpr_count:     9
    .vgpr_spill_count: 0
    .wavefront_size: 64
  - .agpr_count:     0
    .args:
      - .offset:         0
        .size:           8
        .value_kind:     by_value
      - .offset:         8
        .size:           8
        .value_kind:     by_value
      - .offset:         16
        .size:           8
        .value_kind:     by_value
      - .offset:         24
        .size:           8
        .value_kind:     by_value
      - .offset:         32
        .size:           4
        .value_kind:     by_value
      - .address_space:  global
        .offset:         40
        .size:           8
        .value_kind:     global_buffer
      - .address_space:  global
        .offset:         48
        .size:           8
        .value_kind:     global_buffer
      - .address_space:  global
        .offset:         56
        .size:           8
        .value_kind:     global_buffer
      - .address_space:  global
        .offset:         64
        .size:           8
        .value_kind:     global_buffer
      - .offset:         72
        .size:           4
        .value_kind:     by_value
    .group_segment_fixed_size: 0
    .kernarg_segment_align: 8
    .kernarg_segment_size: 76
    .language:       OpenCL C
    .language_version:
      - 2
      - 0
    .max_flat_workgroup_size: 512
    .name:           _ZN9rocsparseL16coo2dense_kernelILj512ElfEEvT0_S1_ll21rocsparse_index_base_PKT1_PKS1_S7_PS3_16rocsparse_order_
    .private_segment_fixed_size: 0
    .sgpr_count:     20
    .sgpr_spill_count: 0
    .symbol:         _ZN9rocsparseL16coo2dense_kernelILj512ElfEEvT0_S1_ll21rocsparse_index_base_PKT1_PKS1_S7_PS3_16rocsparse_order_.kd
    .uniform_work_group_size: 1
    .uses_dynamic_stack: false
    .vgpr_count:     9
    .vgpr_spill_count: 0
    .wavefront_size: 64
  - .agpr_count:     0
    .args:
      - .offset:         0
        .size:           8
        .value_kind:     by_value
      - .offset:         8
        .size:           8
        .value_kind:     by_value
      - .offset:         16
        .size:           8
        .value_kind:     by_value
      - .offset:         24
        .size:           8
        .value_kind:     by_value
      - .offset:         32
        .size:           4
        .value_kind:     by_value
      - .address_space:  global
        .offset:         40
        .size:           8
        .value_kind:     global_buffer
      - .address_space:  global
        .offset:         48
        .size:           8
        .value_kind:     global_buffer
      - .address_space:  global
        .offset:         56
        .size:           8
        .value_kind:     global_buffer
      - .address_space:  global
        .offset:         64
        .size:           8
        .value_kind:     global_buffer
      - .offset:         72
        .size:           4
        .value_kind:     by_value
    .group_segment_fixed_size: 0
    .kernarg_segment_align: 8
    .kernarg_segment_size: 76
    .language:       OpenCL C
    .language_version:
      - 2
      - 0
    .max_flat_workgroup_size: 512
    .name:           _ZN9rocsparseL16coo2dense_kernelILj512EldEEvT0_S1_ll21rocsparse_index_base_PKT1_PKS1_S7_PS3_16rocsparse_order_
    .private_segment_fixed_size: 0
    .sgpr_count:     20
    .sgpr_spill_count: 0
    .symbol:         _ZN9rocsparseL16coo2dense_kernelILj512EldEEvT0_S1_ll21rocsparse_index_base_PKT1_PKS1_S7_PS3_16rocsparse_order_.kd
    .uniform_work_group_size: 1
    .uses_dynamic_stack: false
    .vgpr_count:     10
    .vgpr_spill_count: 0
    .wavefront_size: 64
  - .agpr_count:     0
    .args:
      - .offset:         0
        .size:           8
        .value_kind:     by_value
      - .offset:         8
        .size:           8
        .value_kind:     by_value
      - .offset:         16
        .size:           8
        .value_kind:     by_value
      - .offset:         24
        .size:           8
        .value_kind:     by_value
      - .offset:         32
        .size:           4
        .value_kind:     by_value
      - .address_space:  global
        .offset:         40
        .size:           8
        .value_kind:     global_buffer
      - .address_space:  global
        .offset:         48
        .size:           8
        .value_kind:     global_buffer
      - .address_space:  global
        .offset:         56
        .size:           8
        .value_kind:     global_buffer
      - .address_space:  global
        .offset:         64
        .size:           8
        .value_kind:     global_buffer
      - .offset:         72
        .size:           4
        .value_kind:     by_value
    .group_segment_fixed_size: 0
    .kernarg_segment_align: 8
    .kernarg_segment_size: 76
    .language:       OpenCL C
    .language_version:
      - 2
      - 0
    .max_flat_workgroup_size: 512
    .name:           _ZN9rocsparseL16coo2dense_kernelILj512El21rocsparse_complex_numIfEEEvT0_S3_ll21rocsparse_index_base_PKT1_PKS3_S9_PS5_16rocsparse_order_
    .private_segment_fixed_size: 0
    .sgpr_count:     20
    .sgpr_spill_count: 0
    .symbol:         _ZN9rocsparseL16coo2dense_kernelILj512El21rocsparse_complex_numIfEEEvT0_S3_ll21rocsparse_index_base_PKT1_PKS3_S9_PS5_16rocsparse_order_.kd
    .uniform_work_group_size: 1
    .uses_dynamic_stack: false
    .vgpr_count:     10
    .vgpr_spill_count: 0
    .wavefront_size: 64
  - .agpr_count:     0
    .args:
      - .offset:         0
        .size:           8
        .value_kind:     by_value
      - .offset:         8
        .size:           8
        .value_kind:     by_value
      - .offset:         16
        .size:           8
        .value_kind:     by_value
      - .offset:         24
        .size:           8
        .value_kind:     by_value
      - .offset:         32
        .size:           4
        .value_kind:     by_value
      - .address_space:  global
        .offset:         40
        .size:           8
        .value_kind:     global_buffer
      - .address_space:  global
        .offset:         48
        .size:           8
        .value_kind:     global_buffer
      - .address_space:  global
        .offset:         56
        .size:           8
        .value_kind:     global_buffer
      - .address_space:  global
        .offset:         64
        .size:           8
        .value_kind:     global_buffer
      - .offset:         72
        .size:           4
        .value_kind:     by_value
    .group_segment_fixed_size: 0
    .kernarg_segment_align: 8
    .kernarg_segment_size: 76
    .language:       OpenCL C
    .language_version:
      - 2
      - 0
    .max_flat_workgroup_size: 512
    .name:           _ZN9rocsparseL16coo2dense_kernelILj512El21rocsparse_complex_numIdEEEvT0_S3_ll21rocsparse_index_base_PKT1_PKS3_S9_PS5_16rocsparse_order_
    .private_segment_fixed_size: 0
    .sgpr_count:     20
    .sgpr_spill_count: 0
    .symbol:         _ZN9rocsparseL16coo2dense_kernelILj512El21rocsparse_complex_numIdEEEvT0_S3_ll21rocsparse_index_base_PKT1_PKS3_S9_PS5_16rocsparse_order_.kd
    .uniform_work_group_size: 1
    .uses_dynamic_stack: false
    .vgpr_count:     12
    .vgpr_spill_count: 0
    .wavefront_size: 64
amdhsa.target:   amdgcn-amd-amdhsa--gfx90a
amdhsa.version:
  - 1
  - 2
...

	.end_amdgpu_metadata
